;; amdgpu-corpus repo=ROCm/rocFFT kind=compiled arch=gfx1201 opt=O3
	.text
	.amdgcn_target "amdgcn-amd-amdhsa--gfx1201"
	.amdhsa_code_object_version 6
	.protected	bluestein_single_back_len1617_dim1_half_op_CI_CI ; -- Begin function bluestein_single_back_len1617_dim1_half_op_CI_CI
	.globl	bluestein_single_back_len1617_dim1_half_op_CI_CI
	.p2align	8
	.type	bluestein_single_back_len1617_dim1_half_op_CI_CI,@function
bluestein_single_back_len1617_dim1_half_op_CI_CI: ; @bluestein_single_back_len1617_dim1_half_op_CI_CI
; %bb.0:
	s_load_b128 s[8:11], s[0:1], 0x28
	v_mul_u32_u24_e32 v1, 0x11c, v0
	s_mov_b32 s2, exec_lo
	v_mov_b32_e32 v19, 0
	s_delay_alu instid0(VALU_DEP_2) | instskip(NEXT) | instid1(VALU_DEP_1)
	v_lshrrev_b32_e32 v1, 16, v1
	v_add_nc_u32_e32 v18, ttmp9, v1
	s_wait_kmcnt 0x0
	s_delay_alu instid0(VALU_DEP_1)
	v_cmpx_gt_u64_e64 s[8:9], v[18:19]
	s_cbranch_execz .LBB0_23
; %bb.1:
	s_clause 0x1
	s_load_b128 s[4:7], s[0:1], 0x18
	s_load_b64 s[16:17], s[0:1], 0x0
	v_mul_lo_u16 v1, 0xe7, v1
	s_movk_i32 s2, 0xfcb1
	s_mov_b32 s3, -1
	s_delay_alu instid0(VALU_DEP_1) | instskip(NEXT) | instid1(VALU_DEP_1)
	v_sub_nc_u16 v7, v0, v1
	v_and_b32_e32 v42, 0xffff, v7
	s_wait_kmcnt 0x0
	s_load_b128 s[12:15], s[4:5], 0x0
	s_wait_kmcnt 0x0
	v_mad_co_u64_u32 v[0:1], null, s14, v18, 0
	v_mad_co_u64_u32 v[2:3], null, s12, v42, 0
	s_mul_u64 s[4:5], s[12:13], 0x21b
	s_mul_u64 s[2:3], s[12:13], s[2:3]
	s_delay_alu instid0(SALU_CYCLE_1) | instskip(NEXT) | instid1(VALU_DEP_1)
	s_lshl_b64 s[2:3], s[2:3], 2
	v_mad_co_u64_u32 v[4:5], null, s15, v18, v[1:2]
	s_delay_alu instid0(VALU_DEP_1) | instskip(NEXT) | instid1(VALU_DEP_3)
	v_mov_b32_e32 v1, v4
	v_mad_co_u64_u32 v[5:6], null, s13, v42, v[3:4]
	s_lshl_b64 s[12:13], s[4:5], 2
	v_lshlrev_b32_e32 v35, 2, v42
	s_delay_alu instid0(VALU_DEP_3) | instskip(NEXT) | instid1(VALU_DEP_3)
	v_lshlrev_b64_e32 v[0:1], 2, v[0:1]
	v_mov_b32_e32 v3, v5
	global_load_b32 v44, v35, s[16:17]
	v_add_co_u32 v0, vcc_lo, s10, v0
	v_add_co_ci_u32_e32 v1, vcc_lo, s11, v1, vcc_lo
	v_lshlrev_b64_e32 v[2:3], 2, v[2:3]
	s_clause 0x4
	global_load_b32 v36, v35, s[16:17] offset:5236
	global_load_b32 v43, v35, s[16:17] offset:4312
	;; [unrolled: 1-line block ×5, first 2 shown]
	v_add_co_u32 v0, vcc_lo, v0, v2
	s_wait_alu 0xfffd
	v_add_co_ci_u32_e32 v1, vcc_lo, v1, v3, vcc_lo
	s_wait_alu 0xfffe
	s_delay_alu instid0(VALU_DEP_2) | instskip(SKIP_1) | instid1(VALU_DEP_2)
	v_add_co_u32 v2, vcc_lo, v0, s12
	s_wait_alu 0xfffd
	v_add_co_ci_u32_e32 v3, vcc_lo, s13, v1, vcc_lo
	s_clause 0x1
	global_load_b32 v6, v[0:1], off
	global_load_b32 v8, v[2:3], off
	v_add_co_u32 v0, vcc_lo, v2, s12
	s_wait_alu 0xfffd
	v_add_co_ci_u32_e32 v1, vcc_lo, s13, v3, vcc_lo
	s_delay_alu instid0(VALU_DEP_2) | instskip(SKIP_1) | instid1(VALU_DEP_2)
	v_add_co_u32 v2, vcc_lo, v0, s2
	s_wait_alu 0xfffd
	v_add_co_ci_u32_e32 v3, vcc_lo, s3, v1, vcc_lo
	global_load_b32 v9, v[0:1], off
	v_add_co_u32 v4, vcc_lo, v2, s12
	global_load_b32 v2, v[2:3], off
	s_wait_alu 0xfffd
	v_add_co_ci_u32_e32 v5, vcc_lo, s13, v3, vcc_lo
	v_add_co_u32 v0, vcc_lo, v4, s12
	s_wait_alu 0xfffd
	s_delay_alu instid0(VALU_DEP_2)
	v_add_co_ci_u32_e32 v1, vcc_lo, s13, v5, vcc_lo
	global_load_b32 v3, v[4:5], off
	global_load_b32 v4, v[0:1], off
	s_load_b64 s[4:5], s[0:1], 0x38
	s_load_b128 s[8:11], s[6:7], 0x0
	v_add_co_u32 v16, s6, s16, v35
	s_delay_alu instid0(VALU_DEP_1)
	v_add_co_ci_u32_e64 v17, null, s17, 0, s6
	v_cmp_gt_u16_e32 vcc_lo, 0x4d, v7
	s_wait_loadcnt 0xb
	v_lshrrev_b32_e32 v48, 16, v44
	s_wait_loadcnt 0xa
	v_lshrrev_b32_e32 v37, 16, v36
	;; [unrolled: 2-line block ×5, first 2 shown]
	v_lshrrev_b32_e32 v39, 16, v38
	s_wait_loadcnt 0x5
	v_lshrrev_b32_e32 v5, 16, v6
	v_mul_f16_e32 v10, v48, v6
	s_wait_loadcnt 0x4
	v_lshrrev_b32_e32 v12, 16, v8
	v_mul_f16_e32 v13, v47, v8
	v_mul_f16_e32 v11, v48, v5
	v_fma_f16 v5, v44, v5, -v10
	s_delay_alu instid0(VALU_DEP_4) | instskip(NEXT) | instid1(VALU_DEP_4)
	v_mul_f16_e32 v10, v47, v12
	v_fma_f16 v12, v46, v12, -v13
	s_delay_alu instid0(VALU_DEP_4) | instskip(SKIP_3) | instid1(VALU_DEP_3)
	v_fmac_f16_e32 v11, v44, v6
	s_wait_loadcnt 0x3
	v_lshrrev_b32_e32 v6, 16, v9
	v_mul_f16_e32 v13, v45, v9
	v_pack_b32_f16 v5, v11, v5
	v_fmac_f16_e32 v10, v46, v8
	s_wait_loadcnt 0x2
	v_lshrrev_b32_e32 v8, 16, v2
	v_mul_f16_e32 v11, v45, v6
	v_fma_f16 v6, v43, v6, -v13
	v_mul_f16_e32 v13, v41, v2
	s_delay_alu instid0(VALU_DEP_4) | instskip(NEXT) | instid1(VALU_DEP_4)
	v_mul_f16_e32 v14, v41, v8
	v_fmac_f16_e32 v11, v43, v9
	s_wait_loadcnt 0x1
	v_lshrrev_b32_e32 v9, 16, v3
	s_wait_loadcnt 0x0
	v_lshrrev_b32_e32 v15, 16, v4
	v_fma_f16 v8, v40, v8, -v13
	v_mul_f16_e32 v13, v39, v3
	v_mul_f16_e32 v20, v37, v4
	;; [unrolled: 1-line block ×4, first 2 shown]
	v_fmac_f16_e32 v14, v40, v2
	v_fma_f16 v2, v38, v9, -v13
	v_pack_b32_f16 v6, v11, v6
	v_fmac_f16_e32 v19, v38, v3
	v_fma_f16 v3, v36, v15, -v20
	v_fmac_f16_e32 v21, v36, v4
	v_pack_b32_f16 v4, v10, v12
	v_pack_b32_f16 v8, v14, v8
	;; [unrolled: 1-line block ×3, first 2 shown]
	s_delay_alu instid0(VALU_DEP_4)
	v_pack_b32_f16 v3, v21, v3
	ds_store_b32 v35, v4 offset:2156
	ds_store_b32 v35, v6 offset:4312
	ds_store_2addr_b32 v35, v5, v8 offset1:231
	ds_store_b32 v35, v2 offset:3080
	ds_store_b32 v35, v3 offset:5236
	s_and_saveexec_b32 s6, vcc_lo
	s_cbranch_execz .LBB0_3
; %bb.2:
	v_add_co_u32 v0, s2, v0, s2
	s_wait_alu 0xf1ff
	v_add_co_ci_u32_e64 v1, s2, s3, v1, s2
	global_load_b32 v6, v[16:17], off offset:1848
	v_add_co_u32 v2, s2, v0, s12
	s_wait_alu 0xf1ff
	v_add_co_ci_u32_e64 v3, s2, s13, v1, s2
	s_delay_alu instid0(VALU_DEP_2) | instskip(SKIP_1) | instid1(VALU_DEP_2)
	v_add_co_u32 v4, s2, v2, s12
	s_wait_alu 0xf1ff
	v_add_co_ci_u32_e64 v5, s2, s13, v3, s2
	global_load_b32 v7, v[16:17], off offset:4004
	global_load_b32 v0, v[0:1], off
	global_load_b32 v1, v[16:17], off offset:6160
	global_load_b32 v2, v[2:3], off
	global_load_b32 v3, v[4:5], off
	s_wait_loadcnt 0x5
	v_lshrrev_b32_e32 v4, 16, v6
	s_wait_loadcnt 0x4
	v_lshrrev_b32_e32 v5, 16, v7
	;; [unrolled: 2-line block ×3, first 2 shown]
	v_mul_f16_e32 v9, v4, v0
	s_wait_loadcnt 0x1
	v_lshrrev_b32_e32 v11, 16, v2
	v_lshrrev_b32_e32 v10, 16, v1
	s_wait_loadcnt 0x0
	v_lshrrev_b32_e32 v12, 16, v3
	v_mul_f16_e32 v4, v4, v8
	v_fma_f16 v8, v6, v8, -v9
	v_mul_f16_e32 v9, v5, v2
	v_mul_f16_e32 v5, v5, v11
	;; [unrolled: 1-line block ×4, first 2 shown]
	v_fmac_f16_e32 v4, v6, v0
	v_fma_f16 v0, v7, v11, -v9
	v_fmac_f16_e32 v5, v7, v2
	v_fmac_f16_e32 v13, v1, v3
	v_fma_f16 v1, v1, v12, -v10
	v_pack_b32_f16 v2, v4, v8
	s_delay_alu instid0(VALU_DEP_4) | instskip(NEXT) | instid1(VALU_DEP_3)
	v_pack_b32_f16 v0, v5, v0
	v_pack_b32_f16 v1, v13, v1
	ds_store_b32 v35, v2 offset:1848
	ds_store_b32 v35, v0 offset:4004
	;; [unrolled: 1-line block ×3, first 2 shown]
.LBB0_3:
	s_wait_alu 0xfffe
	s_or_b32 exec_lo, exec_lo, s6
	v_add_nc_u32_e32 v0, 0x840, v35
	v_add_nc_u32_e32 v1, 0x1080, v35
	global_wb scope:SCOPE_SE
	s_wait_dscnt 0x0
	s_wait_kmcnt 0x0
	s_barrier_signal -1
	s_barrier_wait -1
	global_inv scope:SCOPE_SE
	ds_load_2addr_b32 v[2:3], v35 offset1:231
	ds_load_2addr_b32 v[4:5], v0 offset0:11 offset1:242
	ds_load_2addr_b32 v[0:1], v1 offset0:22 offset1:253
	s_load_b64 s[2:3], s[0:1], 0x8
                                        ; implicit-def: $vgpr7
                                        ; implicit-def: $vgpr8
                                        ; implicit-def: $vgpr6
	s_and_saveexec_b32 s0, vcc_lo
	s_cbranch_execz .LBB0_5
; %bb.4:
	ds_load_b32 v7, v35 offset:1848
	ds_load_b32 v8, v35 offset:4004
	ds_load_b32 v6, v35 offset:6160
.LBB0_5:
	s_wait_alu 0xfffe
	s_or_b32 exec_lo, exec_lo, s0
	s_wait_dscnt 0x0
	v_pk_add_f16 v9, v8, v6
	v_pk_add_f16 v10, v8, v6 neg_lo:[0,1] neg_hi:[0,1]
	v_pk_add_f16 v13, v2, v4
	v_mul_lo_u16 v15, v42, 3
	v_pk_add_f16 v19, v4, v0
	v_pk_fma_f16 v9, v9, 0.5, v7 op_sel_hi:[1,0,1] neg_lo:[1,0,0] neg_hi:[1,0,0]
	v_pk_mul_f16 v10, 0x3aee, v10 op_sel_hi:[0,1]
	v_pk_add_f16 v4, v4, v0 neg_lo:[0,1] neg_hi:[0,1]
	v_pk_add_f16 v14, v3, v5
	v_add_nc_u32_e32 v11, 0xe7, v42
	v_pk_fma_f16 v2, v19, 0.5, v2 op_sel_hi:[1,0,1] neg_lo:[1,0,0] neg_hi:[1,0,0]
	v_pk_add_f16 v28, v9, v10 op_sel:[0,1] op_sel_hi:[1,0]
	v_pk_add_f16 v29, v9, v10 op_sel:[0,1] op_sel_hi:[1,0] neg_lo:[0,1] neg_hi:[0,1]
	v_pk_add_f16 v10, v5, v1
	v_pk_add_f16 v5, v5, v1 neg_lo:[0,1] neg_hi:[0,1]
	v_and_b32_e32 v9, 0xffff, v15
	v_pk_mul_f16 v4, 0x3aee, v4 op_sel_hi:[0,1]
	v_add_co_u32 v12, null, 0x1ce, v42
	v_pk_fma_f16 v3, v10, 0.5, v3 op_sel_hi:[1,0,1] neg_lo:[1,0,0] neg_hi:[1,0,0]
	v_pk_mul_f16 v5, 0x3aee, v5 op_sel_hi:[0,1]
	v_lshlrev_b32_e32 v49, 2, v9
	v_pk_add_f16 v9, v2, v4 op_sel:[0,1] op_sel_hi:[1,0]
	v_pk_add_f16 v2, v2, v4 op_sel:[0,1] op_sel_hi:[1,0] neg_lo:[0,1] neg_hi:[0,1]
	v_mul_u32_u24_e32 v4, 3, v11
	v_pk_add_f16 v10, v3, v5 op_sel:[0,1] op_sel_hi:[1,0]
	v_pk_add_f16 v3, v3, v5 op_sel:[0,1] op_sel_hi:[1,0] neg_lo:[0,1] neg_hi:[0,1]
	v_lshrrev_b32_e32 v76, 16, v28
	v_pk_add_f16 v0, v13, v0
	v_bfi_b32 v5, 0xffff, v9, v2
	v_lshlrev_b32_e32 v51, 2, v4
	v_mul_u32_u24_e32 v50, 3, v12
	v_bfi_b32 v2, 0xffff, v2, v9
	v_pk_add_f16 v1, v14, v1
	v_bfi_b32 v4, 0xffff, v10, v3
	v_bfi_b32 v3, 0xffff, v3, v10
	global_wb scope:SCOPE_SE
	s_wait_kmcnt 0x0
	s_barrier_signal -1
	s_barrier_wait -1
	global_inv scope:SCOPE_SE
	ds_store_2addr_b32 v49, v0, v5 offset1:1
	ds_store_b32 v49, v2 offset:8
	ds_store_2addr_b32 v51, v1, v4 offset1:1
	ds_store_b32 v51, v3 offset:8
	s_and_saveexec_b32 s0, vcc_lo
	s_cbranch_execz .LBB0_7
; %bb.6:
	v_pk_add_f16 v0, v7, v8
	v_lshlrev_b32_e32 v1, 2, v50
	v_bfi_b32 v2, 0xffff, v28, v29
	v_perm_b32 v3, v76, v29, 0x5040100
	s_delay_alu instid0(VALU_DEP_4)
	v_pk_add_f16 v0, v0, v6
	ds_store_b32 v1, v0
	ds_store_2addr_b32 v1, v2, v3 offset0:1 offset1:2
.LBB0_7:
	s_wait_alu 0xfffe
	s_or_b32 exec_lo, exec_lo, s0
	v_and_b32_e32 v4, 0xff, v42
	global_wb scope:SCOPE_SE
	s_wait_dscnt 0x0
	s_barrier_signal -1
	s_barrier_wait -1
	global_inv scope:SCOPE_SE
	v_mul_lo_u16 v0, 0xab, v4
	v_mul_lo_u16 v4, 0x87, v4
	v_add_nc_u32_e32 v14, 0xe40, v35
	v_add_nc_u32_e32 v13, 0x700, v35
	v_cmp_gt_u16_e64 s0, 0x93, v42
	v_lshrrev_b16 v10, 9, v0
	v_lshrrev_b16 v12, 8, v4
	v_lshrrev_b32_e32 v77, 16, v29
                                        ; implicit-def: $vgpr99
                                        ; implicit-def: $vgpr98
                                        ; implicit-def: $vgpr100
	s_delay_alu instid0(VALU_DEP_3) | instskip(NEXT) | instid1(VALU_DEP_3)
	v_mul_lo_u16 v0, v10, 3
	v_sub_nc_u16 v6, v42, v12
	v_and_b32_e32 v10, 0xffff, v10
	s_delay_alu instid0(VALU_DEP_3) | instskip(NEXT) | instid1(VALU_DEP_3)
	v_sub_nc_u16 v0, v42, v0
	v_lshrrev_b16 v8, 1, v6
	s_delay_alu instid0(VALU_DEP_3) | instskip(NEXT) | instid1(VALU_DEP_3)
	v_mul_u32_u24_e32 v10, 21, v10
	v_and_b32_e32 v11, 0xff, v0
	s_delay_alu instid0(VALU_DEP_3) | instskip(NEXT) | instid1(VALU_DEP_2)
	v_and_b32_e32 v21, 0x7f, v8
	v_mul_u32_u24_e32 v0, 6, v11
	s_delay_alu instid0(VALU_DEP_2) | instskip(SKIP_1) | instid1(VALU_DEP_3)
	v_add_nc_u16 v12, v21, v12
	v_add_lshl_u32 v52, v10, v11, 2
	v_lshlrev_b32_e32 v5, 2, v0
	s_delay_alu instid0(VALU_DEP_3)
	v_lshrrev_b16 v12, 4, v12
	s_clause 0x1
	global_load_b128 v[0:3], v5, s[2:3]
	global_load_b64 v[19:20], v5, s[2:3] offset:16
	ds_load_2addr_b32 v[4:5], v35 offset1:231
	ds_load_b32 v15, v35 offset:5544
	ds_load_2addr_b32 v[6:7], v13 offset0:14 offset1:245
	ds_load_2addr_b32 v[8:9], v14 offset0:12 offset1:243
	v_and_b32_e32 v23, 15, v12
	global_wb scope:SCOPE_SE
	s_wait_loadcnt_dscnt 0x0
	s_barrier_signal -1
	s_barrier_wait -1
	global_inv scope:SCOPE_SE
	v_mul_lo_u16 v25, v23, 21
	s_delay_alu instid0(VALU_DEP_1) | instskip(NEXT) | instid1(VALU_DEP_1)
	v_sub_nc_u16 v10, v42, v25
	v_and_b32_e32 v25, 0xff, v10
	v_lshrrev_b32_e32 v12, 16, v5
	v_lshrrev_b32_e32 v22, 16, v15
	;; [unrolled: 1-line block ×13, first 2 shown]
	v_mul_f16_e32 v10, v12, v59
	v_mul_f16_e32 v11, v5, v59
	;; [unrolled: 1-line block ×12, first 2 shown]
	v_fma_f16 v5, v5, v0, -v10
	v_fmac_f16_e32 v11, v12, v0
	v_fma_f16 v6, v6, v1, -v31
	v_fmac_f16_e32 v32, v24, v1
	;; [unrolled: 2-line block ×6, first 2 shown]
	v_add_f16_e32 v12, v5, v10
	v_add_f16_e32 v15, v11, v64
	v_sub_f16_e32 v5, v5, v10
	v_sub_f16_e32 v10, v11, v64
	v_add_f16_e32 v11, v6, v9
	v_add_f16_e32 v22, v32, v62
	v_sub_f16_e32 v6, v6, v9
	v_sub_f16_e32 v9, v32, v62
	;; [unrolled: 4-line block ×4, first 2 shown]
	v_sub_f16_e32 v12, v12, v24
	v_sub_f16_e32 v15, v15, v26
	;; [unrolled: 1-line block ×4, first 2 shown]
	v_add_f16_e32 v33, v7, v6
	v_add_f16_e32 v34, v8, v9
	v_sub_f16_e32 v53, v7, v6
	v_sub_f16_e32 v60, v8, v9
	;; [unrolled: 1-line block ×4, first 2 shown]
	v_add_f16_e32 v24, v24, v27
	v_add_f16_e32 v26, v26, v30
	v_sub_f16_e32 v7, v5, v7
	v_sub_f16_e32 v8, v10, v8
	v_add_f16_e32 v5, v33, v5
	v_add_f16_e32 v10, v34, v10
	v_mul_f16_e32 v12, 0x3a52, v12
	v_mul_f16_e32 v15, 0x3a52, v15
	;; [unrolled: 1-line block ×8, first 2 shown]
	v_add_f16_e32 v4, v4, v24
	v_add_f16_e32 v21, v21, v26
	v_fmamk_f16 v11, v11, 0x2b26, v12
	v_fmamk_f16 v22, v22, 0x2b26, v15
	v_fma_f16 v27, v31, 0x39e0, -v27
	v_fma_f16 v30, v32, 0x39e0, -v30
	;; [unrolled: 1-line block ×4, first 2 shown]
	v_fmamk_f16 v31, v7, 0x3574, v33
	v_fmamk_f16 v32, v8, 0x3574, v34
	v_fma_f16 v6, v6, 0x3b00, -v33
	v_fma_f16 v9, v9, 0x3b00, -v34
	;; [unrolled: 1-line block ×4, first 2 shown]
	v_fmamk_f16 v24, v24, 0xbcab, v4
	v_fmamk_f16 v26, v26, 0xbcab, v21
	v_fmac_f16_e32 v31, 0x370e, v5
	v_fmac_f16_e32 v6, 0x370e, v5
	v_fmac_f16_e32 v9, 0x370e, v10
	v_fmac_f16_e32 v7, 0x370e, v5
	v_fmac_f16_e32 v8, 0x370e, v10
	v_pack_b32_f16 v4, v4, v21
	v_add_f16_e32 v5, v11, v24
	v_add_f16_e32 v11, v27, v24
	;; [unrolled: 1-line block ×5, first 2 shown]
	v_fmac_f16_e32 v32, 0x370e, v10
	v_add_f16_e32 v10, v22, v26
	v_add_f16_e32 v26, v8, v12
	v_sub_f16_e32 v27, v15, v7
	v_sub_f16_e32 v30, v11, v9
	v_add_f16_e32 v33, v6, v21
	v_add_f16_e32 v9, v9, v11
	v_sub_f16_e32 v6, v21, v6
	v_sub_f16_e32 v8, v12, v8
	v_add_f16_e32 v7, v7, v15
	v_add_f16_e32 v22, v32, v5
	v_sub_f16_e32 v24, v10, v31
	v_pack_b32_f16 v6, v9, v6
	v_sub_f16_e32 v5, v5, v32
	v_pack_b32_f16 v7, v8, v7
	v_mad_co_u64_u32 v[8:9], null, v25, 24, s[2:3]
	v_add_f16_e32 v10, v31, v10
	v_pack_b32_f16 v11, v22, v24
	v_pack_b32_f16 v12, v26, v27
	;; [unrolled: 1-line block ×3, first 2 shown]
	s_delay_alu instid0(VALU_DEP_4)
	v_pack_b32_f16 v5, v5, v10
	ds_store_2addr_b32 v52, v4, v11 offset1:3
	ds_store_2addr_b32 v52, v12, v15 offset0:6 offset1:9
	ds_store_2addr_b32 v52, v6, v7 offset0:12 offset1:15
	ds_store_b32 v52, v5 offset:72
	global_wb scope:SCOPE_SE
	s_wait_dscnt 0x0
	s_barrier_signal -1
	s_barrier_wait -1
	global_inv scope:SCOPE_SE
	s_clause 0x1
	global_load_b128 v[4:7], v[8:9], off offset:72
	global_load_b64 v[21:22], v[8:9], off offset:88
	ds_load_2addr_b32 v[8:9], v35 offset1:231
	ds_load_2addr_b32 v[10:11], v13 offset0:14 offset1:245
	ds_load_2addr_b32 v[12:13], v14 offset0:12 offset1:243
	ds_load_b32 v15, v35 offset:5544
	v_and_b32_e32 v14, 0xffff, v23
	global_wb scope:SCOPE_SE
	s_wait_loadcnt_dscnt 0x0
	s_barrier_signal -1
	s_barrier_wait -1
	global_inv scope:SCOPE_SE
	v_mul_u32_u24_e32 v14, 0x93, v14
	s_delay_alu instid0(VALU_DEP_1)
	v_add_lshl_u32 v53, v14, v25, 2
	v_lshrrev_b32_e32 v23, 16, v9
	v_lshrrev_b32_e32 v24, 16, v10
	;; [unrolled: 1-line block ×13, first 2 shown]
	v_mul_f16_e32 v31, v23, v71
	v_mul_f16_e32 v32, v9, v71
	;; [unrolled: 1-line block ×12, first 2 shown]
	v_fma_f16 v9, v9, v4, -v31
	v_fmac_f16_e32 v32, v23, v4
	v_fma_f16 v10, v10, v5, -v33
	v_fmac_f16_e32 v34, v24, v5
	;; [unrolled: 2-line block ×6, first 2 shown]
	v_add_f16_e32 v23, v9, v15
	v_add_f16_e32 v24, v32, v73
	;; [unrolled: 1-line block ×4, first 2 shown]
	v_sub_f16_e32 v9, v9, v15
	v_sub_f16_e32 v15, v32, v73
	;; [unrolled: 1-line block ×4, first 2 shown]
	v_add_f16_e32 v27, v11, v12
	v_add_f16_e32 v30, v61, v63
	v_sub_f16_e32 v11, v12, v11
	v_sub_f16_e32 v12, v63, v61
	v_add_f16_e32 v31, v25, v23
	v_add_f16_e32 v32, v26, v24
	v_sub_f16_e32 v33, v25, v23
	v_sub_f16_e32 v34, v26, v24
	;; [unrolled: 1-line block ×6, first 2 shown]
	v_add_f16_e32 v25, v11, v10
	v_add_f16_e32 v61, v12, v13
	v_sub_f16_e32 v62, v11, v10
	v_sub_f16_e32 v63, v12, v13
	v_add_f16_e32 v27, v27, v31
	v_add_f16_e32 v30, v30, v32
	v_sub_f16_e32 v10, v10, v9
	v_sub_f16_e32 v13, v13, v15
	;; [unrolled: 1-line block ×4, first 2 shown]
	v_add_f16_e32 v9, v25, v9
	v_add_f16_e32 v15, v61, v15
	v_mul_f16_e32 v23, 0x3a52, v23
	v_mul_f16_e32 v24, 0x3a52, v24
	;; [unrolled: 1-line block ×4, first 2 shown]
	v_add_f16_e32 v25, v8, v27
	v_add_f16_e32 v79, v14, v30
	v_mul_f16_e32 v31, 0x2b26, v60
	v_mul_f16_e32 v32, 0x2b26, v26
	;; [unrolled: 1-line block ×4, first 2 shown]
	v_fmamk_f16 v8, v60, 0x2b26, v23
	v_fmamk_f16 v14, v26, 0x2b26, v24
	;; [unrolled: 1-line block ×6, first 2 shown]
	v_fma_f16 v26, v33, 0x39e0, -v31
	v_fma_f16 v31, v34, 0x39e0, -v32
	;; [unrolled: 1-line block ×8, first 2 shown]
	v_fmac_f16_e32 v60, 0x370e, v9
	v_fmac_f16_e32 v68, 0x370e, v15
	v_add_f16_e32 v8, v8, v27
	v_add_f16_e32 v14, v14, v30
	v_fmac_f16_e32 v10, 0x370e, v9
	v_fmac_f16_e32 v13, 0x370e, v15
	;; [unrolled: 1-line block ×4, first 2 shown]
	v_add_f16_e32 v15, v26, v27
	v_add_f16_e32 v23, v23, v27
	;; [unrolled: 1-line block ×5, first 2 shown]
	v_sub_f16_e32 v78, v14, v60
	v_add_f16_e32 v31, v12, v23
	v_sub_f16_e32 v90, v24, v11
	v_sub_f16_e32 v32, v15, v13
	v_add_f16_e32 v94, v10, v27
	v_add_f16_e32 v33, v13, v15
	v_sub_f16_e32 v95, v27, v10
	v_sub_f16_e32 v34, v23, v12
	v_add_f16_e32 v96, v11, v24
	v_sub_f16_e32 v27, v8, v68
	v_add_f16_e32 v97, v60, v14
	v_pack_b32_f16 v9, v25, v79
	v_pack_b32_f16 v8, v26, v78
	;; [unrolled: 1-line block ×7, first 2 shown]
	ds_store_2addr_b32 v53, v9, v8 offset1:21
	ds_store_2addr_b32 v53, v10, v11 offset0:42 offset1:63
	ds_store_2addr_b32 v53, v12, v13 offset0:84 offset1:105
	ds_store_b32 v53, v14 offset:504
	global_wb scope:SCOPE_SE
	s_wait_dscnt 0x0
	s_barrier_signal -1
	s_barrier_wait -1
	global_inv scope:SCOPE_SE
	s_and_saveexec_b32 s1, s0
	s_cbranch_execz .LBB0_9
; %bb.8:
	v_add_nc_u32_e32 v8, 0x400, v35
	v_add_nc_u32_e32 v9, 0x800, v35
	v_add_nc_u32_e32 v10, 0xd00, v35
	ds_load_2addr_b32 v[25:26], v35 offset1:147
	ds_load_2addr_b32 v[31:32], v8 offset0:38 offset1:185
	v_add_nc_u32_e32 v8, 0x1200, v35
	ds_load_2addr_b32 v[33:34], v9 offset0:76 offset1:223
	ds_load_2addr_b32 v[27:28], v10 offset0:50 offset1:197
	ds_load_2addr_b32 v[29:30], v8 offset0:24 offset1:171
	ds_load_b32 v98, v35 offset:5880
	s_wait_dscnt 0x5
	v_lshrrev_b32_e32 v79, 16, v25
	v_lshrrev_b32_e32 v78, 16, v26
	s_wait_dscnt 0x4
	v_lshrrev_b32_e32 v90, 16, v31
	v_lshrrev_b32_e32 v94, 16, v32
	;; [unrolled: 3-line block ×5, first 2 shown]
	s_wait_dscnt 0x0
	v_lshrrev_b32_e32 v100, 16, v98
.LBB0_9:
	s_wait_alu 0xfffe
	s_or_b32 exec_lo, exec_lo, s1
	v_add_nc_u32_e32 v8, 0xffffff6d, v42
	s_delay_alu instid0(VALU_DEP_1) | instskip(NEXT) | instid1(VALU_DEP_1)
	v_cndmask_b32_e64 v8, v8, v42, s0
	v_mul_i32_i24_e32 v9, 40, v8
	v_mul_hi_i32_i24_e32 v8, 40, v8
	s_delay_alu instid0(VALU_DEP_2) | instskip(SKIP_1) | instid1(VALU_DEP_2)
	v_add_co_u32 v23, s1, s2, v9
	s_wait_alu 0xf1ff
	v_add_co_ci_u32_e64 v24, s1, s3, v8, s1
	s_clause 0x2
	global_load_b128 v[12:15], v[23:24], off offset:576
	global_load_b128 v[8:11], v[23:24], off offset:592
	global_load_b64 v[23:24], v[23:24], off offset:608
	s_wait_loadcnt 0x2
	v_lshrrev_b32_e32 v74, 16, v12
	v_lshrrev_b32_e32 v68, 16, v14
	s_wait_loadcnt 0x1
	v_lshrrev_b32_e32 v61, 16, v9
	s_wait_loadcnt 0x0
	v_lshrrev_b32_e32 v75, 16, v24
	v_lshrrev_b32_e32 v72, 16, v13
	;; [unrolled: 1-line block ×7, first 2 shown]
	v_mul_f16_e32 v91, v78, v74
	v_mul_f16_e32 v89, v26, v74
	;; [unrolled: 1-line block ×19, first 2 shown]
	v_fma_f16 v93, v26, v12, -v91
	v_fmac_f16_e32 v89, v78, v12
	v_fma_f16 v91, v32, v14, -v101
	v_fma_f16 v32, v27, v9, -v104
	;; [unrolled: 1-line block ×3, first 2 shown]
	v_fmac_f16_e32 v81, v100, v24
	v_mul_f16_e32 v103, v96, v60
	v_fma_f16 v92, v31, v13, -v92
	v_fmac_f16_e32 v88, v90, v13
	v_fmac_f16_e32 v87, v94, v14
	v_fma_f16 v90, v33, v15, -v102
	v_fmac_f16_e32 v86, v95, v15
	v_fmac_f16_e32 v85, v96, v8
	;; [unrolled: 1-line block ×3, first 2 shown]
	v_fma_f16 v31, v28, v10, -v105
	v_fmac_f16_e32 v83, v77, v10
	v_fma_f16 v28, v29, v11, -v106
	v_fmac_f16_e32 v82, v76, v11
	;; [unrolled: 2-line block ×3, first 2 shown]
	v_sub_f16_e32 v26, v93, v27
	v_sub_f16_e32 v76, v89, v81
	v_fma_f16 v33, v34, v8, -v103
	v_add_f16_e32 v30, v93, v27
	v_add_f16_e32 v34, v89, v81
	v_sub_f16_e32 v77, v92, v29
	v_sub_f16_e32 v78, v88, v80
	;; [unrolled: 1-line block ×7, first 2 shown]
	v_mul_f16_e32 v100, 0xb853, v76
	v_mul_f16_e32 v102, 0xb853, v26
	;; [unrolled: 1-line block ×5, first 2 shown]
	v_mul_f16_e64 v129, 0xbbeb, v26
	v_mul_f16_e64 v134, 0xba0c, v76
	;; [unrolled: 1-line block ×5, first 2 shown]
	v_add_f16_e32 v105, v92, v29
	v_add_f16_e32 v106, v88, v80
	v_sub_f16_e32 v99, v33, v32
	v_mul_f16_e32 v101, 0xbb47, v78
	v_mul_f16_e32 v104, 0xbb47, v77
	v_mul_f16_e32 v121, 0xba0c, v78
	v_mul_f16_e32 v124, 0xba0c, v77
	v_mul_f16_e32 v127, 0x3482, v78
	v_mul_f16_e64 v131, 0x3482, v77
	v_mul_f16_e64 v137, 0x3beb, v78
	;; [unrolled: 1-line block ×5, first 2 shown]
	v_mul_f16_e32 v103, 0xbbeb, v95
	v_mul_f16_e32 v108, 0xbbeb, v94
	v_mul_f16_e32 v113, 0x3482, v95
	v_mul_f16_e32 v123, 0x3482, v94
	v_mul_f16_e32 v126, 0x3b47, v95
	v_mul_f16_e64 v130, 0x3b47, v94
	v_mul_f16_e64 v135, 0xb853, v95
	;; [unrolled: 1-line block ×5, first 2 shown]
	v_mul_f16_e32 v107, 0xba0c, v96
	v_mul_f16_e32 v110, 0xba0c, v97
	;; [unrolled: 1-line block ×4, first 2 shown]
	v_mul_f16_e64 v128, 0xb853, v96
	v_mul_f16_e64 v132, 0xb853, v97
	;; [unrolled: 1-line block ×6, first 2 shown]
	v_mul_f16_e32 v109, 0xb482, v98
	v_mul_f16_e32 v111, 0xba0c, v98
	v_mul_f16_e64 v136, 0x3b47, v98
	v_mul_f16_e64 v152, 0xbbeb, v98
	v_mul_f16_e32 v117, 0x3853, v98
	v_fmamk_f16 v26, v30, 0x3abb, v100
	v_fma_f16 v76, v34, 0x3abb, -v102
	v_fmamk_f16 v77, v30, 0x36a6, v120
	v_fma_f16 v78, v34, 0x36a6, -v122
	;; [unrolled: 2-line block ×3, first 2 shown]
	v_fma_f16 v96, 0xb93d, v30, v134
	v_fma_f16 v97, v34, 0xb93d, -v143
	v_fma_f16 v98, 0xbbad, v30, v148
	v_fma_f16 v158, v34, 0xbbad, -v153
	v_add_f16_e32 v114, v91, v28
	v_add_f16_e32 v115, v87, v82
	v_mul_f16_e32 v112, 0xb482, v99
	v_mul_f16_e32 v119, 0x3853, v99
	v_mul_f16_e64 v133, 0xba0c, v99
	v_mul_f16_e64 v146, 0x3b47, v99
	;; [unrolled: 1-line block ×3, first 2 shown]
	v_fmamk_f16 v99, v105, 0x36a6, v101
	v_fma_f16 v159, v106, 0x36a6, -v104
	v_fma_f16 v160, 0xb93d, v105, v121
	v_fma_f16 v161, v106, 0xb93d, -v124
	v_fma_f16 v162, 0xbbad, v105, v127
	;; [unrolled: 2-line block ×4, first 2 shown]
	v_fma_f16 v167, v106, 0x3abb, -v155
	v_add_f16_e32 v26, v25, v26
	v_add_f16_e32 v76, v79, v76
	;; [unrolled: 1-line block ×9, first 2 shown]
	v_add_f16_e64 v158, v79, v158
	v_add_f16_e64 v139, v90, v31
	;; [unrolled: 1-line block ×3, first 2 shown]
	v_fma_f16 v168, 0xb08e, v114, v103
	v_fma_f16 v169, v115, 0xb08e, -v108
	v_fma_f16 v170, 0xbbad, v114, v113
	v_fma_f16 v171, v115, 0xbbad, -v123
	;; [unrolled: 2-line block ×5, first 2 shown]
	v_add_f16_e32 v26, v99, v26
	v_add_f16_e64 v76, v159, v76
	v_add_f16_e64 v77, v160, v77
	;; [unrolled: 1-line block ×11, first 2 shown]
	v_fma_f16 v178, 0xb93d, v139, v107
	v_fma_f16 v179, v140, 0xb93d, -v110
	v_fma_f16 v180, 0xb08e, v139, v116
	v_fma_f16 v181, v140, 0xb08e, -v118
	;; [unrolled: 2-line block ×5, first 2 shown]
	v_add_f16_e64 v26, v168, v26
	v_add_f16_e64 v76, v169, v76
	;; [unrolled: 1-line block ×10, first 2 shown]
	v_fma_f16 v188, 0xbbad, v142, v109
	v_fma_f16 v189, v144, 0xbbad, -v112
	v_fma_f16 v190, v144, 0x3abb, -v119
	v_fma_f16 v191, 0xb93d, v142, v111
	v_fma_f16 v192, v144, 0xb93d, -v133
	v_fma_f16 v193, 0x36a6, v142, v136
	;; [unrolled: 2-line block ×4, first 2 shown]
	v_add_f16_e64 v26, v178, v26
	v_add_f16_e64 v158, v179, v76
	;; [unrolled: 1-line block ×20, first 2 shown]
	s_and_saveexec_b32 s1, s0
	s_cbranch_execz .LBB0_11
; %bb.10:
	v_mul_f16_e64 v159, 0x3abb, v34
	v_mul_f16_e64 v161, 0x36a6, v34
	;; [unrolled: 1-line block ×4, first 2 shown]
	v_mul_f16_e32 v34, 0xbbad, v34
	v_mul_f16_e64 v167, 0x36a6, v106
	v_mul_f16_e64 v169, 0xb93d, v106
	;; [unrolled: 1-line block ×4, first 2 shown]
	v_mul_f16_e32 v106, 0x3abb, v106
	v_add_f16_e64 v34, v153, v34
	v_mul_f16_e64 v158, 0x3abb, v30
	v_mul_f16_e64 v160, 0x36a6, v30
	;; [unrolled: 1-line block ×4, first 2 shown]
	v_mul_f16_e32 v30, 0xbbad, v30
	v_mul_f16_e64 v175, 0xb08e, v115
	v_mul_f16_e64 v177, 0xbbad, v115
	;; [unrolled: 1-line block ×4, first 2 shown]
	v_mul_f16_e32 v115, 0xb93d, v115
	v_add_f16_e32 v34, v79, v34
	v_add_f16_e64 v106, v155, v106
	v_mul_f16_e64 v166, 0x36a6, v105
	v_mul_f16_e64 v168, 0xb93d, v105
	;; [unrolled: 1-line block ×4, first 2 shown]
	v_mul_f16_e32 v105, 0x3abb, v105
	v_mul_f16_e64 v183, 0xb93d, v140
	v_mul_f16_e64 v185, 0xb08e, v140
	;; [unrolled: 1-line block ×5, first 2 shown]
	v_sub_f16_e64 v30, v30, v148
	v_add_f16_e32 v34, v106, v34
	v_add_f16_e64 v106, v154, v115
	v_add_f16_e32 v93, v25, v93
	v_add_f16_e32 v89, v79, v89
	v_mul_f16_e64 v174, 0xb08e, v114
	v_mul_f16_e64 v176, 0xbbad, v114
	;; [unrolled: 1-line block ×4, first 2 shown]
	v_mul_f16_e32 v114, 0xb93d, v114
	v_add_f16_e32 v30, v25, v30
	v_sub_f16_e64 v105, v105, v150
	v_add_f16_e32 v34, v106, v34
	v_add_f16_e64 v106, v156, v140
	v_mul_f16_e64 v140, 0xb08e, v144
	v_add_f16_e64 v143, v143, v165
	v_add_f16_e32 v92, v93, v92
	v_add_f16_e32 v88, v89, v88
	;; [unrolled: 1-line block ×3, first 2 shown]
	v_sub_f16_e64 v105, v114, v149
	v_add_f16_e32 v34, v106, v34
	v_add_f16_e64 v106, v157, v140
	v_add_f16_e64 v114, v79, v143
	v_add_f16_e64 v140, v147, v173
	v_add_f16_e32 v91, v92, v91
	v_add_f16_e32 v87, v88, v87
	v_mul_f16_e64 v182, 0xb93d, v139
	v_mul_f16_e64 v184, 0xb08e, v139
	;; [unrolled: 1-line block ×5, first 2 shown]
	v_add_f16_e32 v34, v106, v34
	v_add_f16_e64 v106, v140, v114
	v_add_f16_e64 v114, v145, v181
	v_add_f16_e32 v90, v91, v90
	v_add_f16_e32 v86, v87, v86
	;; [unrolled: 1-line block ×3, first 2 shown]
	v_sub_f16_e64 v105, v139, v151
	v_sub_f16_e64 v134, v164, v134
	v_add_f16_e32 v106, v114, v106
	v_add_f16_e64 v114, v129, v163
	v_sub_f16_e64 v125, v162, v125
	v_add_f16_e64 v122, v122, v161
	v_sub_f16_e64 v120, v160, v120
	;; [unrolled: 2-line block ×3, first 2 shown]
	v_add_f16_e32 v33, v90, v33
	v_add_f16_e32 v85, v86, v85
	v_add_f16_e32 v30, v105, v30
	v_add_f16_e64 v105, v25, v134
	v_sub_f16_e64 v134, v172, v137
	v_add_f16_e32 v114, v79, v114
	v_add_f16_e32 v125, v25, v125
	;; [unrolled: 1-line block ×5, first 2 shown]
	v_add_f16_e64 v87, v104, v167
	v_add_f16_e32 v25, v25, v100
	v_sub_f16_e64 v86, v166, v101
	v_add_f16_e32 v32, v33, v32
	v_add_f16_e32 v33, v85, v84
	v_add_f16_e64 v129, v141, v189
	v_add_f16_e64 v105, v134, v105
	v_sub_f16_e64 v134, v180, v135
	v_add_f16_e64 v131, v131, v171
	v_sub_f16_e64 v127, v170, v127
	;; [unrolled: 2-line block ×3, first 2 shown]
	v_add_f16_e32 v79, v87, v79
	v_add_f16_e64 v87, v108, v175
	v_add_f16_e32 v25, v86, v25
	v_sub_f16_e64 v84, v174, v103
	v_add_f16_e32 v31, v32, v31
	v_add_f16_e32 v32, v33, v83
	v_mul_f16_e64 v153, 0xbbad, v142
	v_mul_f16_e64 v190, 0xbbad, v144
	v_add_f16_e64 v106, v129, v106
	v_add_f16_e64 v105, v134, v105
	v_sub_f16_e64 v129, v188, v138
	v_add_f16_e64 v114, v131, v114
	v_add_f16_e64 v130, v130, v179
	v_add_f16_e32 v125, v127, v125
	v_sub_f16_e64 v126, v178, v126
	v_add_f16_e32 v122, v124, v122
	v_add_f16_e64 v123, v123, v177
	v_add_f16_e32 v120, v121, v120
	v_sub_f16_e64 v113, v176, v113
	v_add_f16_e32 v79, v87, v79
	;; [unrolled: 4-line block ×3, first 2 shown]
	v_add_f16_e32 v31, v32, v82
	v_mul_f16_e64 v191, 0x3abb, v142
	v_mul_f16_e64 v192, 0x3abb, v144
	;; [unrolled: 1-line block ×4, first 2 shown]
	v_add_f16_e64 v105, v129, v105
	v_add_f16_e64 v114, v130, v114
	;; [unrolled: 1-line block ×3, first 2 shown]
	v_add_f16_e32 v125, v126, v125
	v_sub_f16_e64 v126, v186, v128
	v_add_f16_e32 v122, v123, v122
	v_add_f16_e64 v118, v118, v185
	v_add_f16_e32 v113, v113, v120
	v_sub_f16_e64 v92, v184, v116
	v_add_f16_e32 v32, v33, v79
	v_add_f16_e64 v33, v112, v190
	v_add_f16_e32 v25, v83, v25
	v_add_f16_e32 v28, v28, v29
	;; [unrolled: 1-line block ×3, first 2 shown]
	v_sub_f16_e64 v31, v153, v109
	v_mul_f16_e64 v194, 0x36a6, v142
	v_mul_f16_e64 v115, 0x36a6, v144
	;; [unrolled: 1-line block ×3, first 2 shown]
	v_add_f16_e64 v114, v129, v114
	v_add_f16_e64 v127, v133, v193
	v_add_f16_e32 v124, v126, v125
	v_add_f16_e32 v89, v118, v122
	v_add_f16_e64 v93, v119, v192
	v_add_f16_e32 v79, v92, v113
	v_add_f16_e32 v32, v33, v32
	;; [unrolled: 1-line block ×5, first 2 shown]
	v_sub_f16_e64 v29, v191, v117
	v_sub_f16_e64 v31, v155, v111
	;; [unrolled: 1-line block ×3, first 2 shown]
	v_add_f16_e64 v115, v146, v115
	v_sub_f16_e64 v130, v194, v136
	v_add_f16_e32 v114, v127, v114
	v_add_f16_e32 v33, v93, v89
	v_pack_b32_f16 v27, v27, v28
	v_pack_b32_f16 v25, v25, v32
	v_add_f16_e32 v28, v29, v79
	v_add_f16_e32 v29, v31, v124
	v_add_f16_e64 v30, v137, v30
	v_add_f16_e32 v31, v115, v106
	v_add_f16_e64 v32, v130, v105
	ds_store_2addr_b32 v35, v27, v25 offset1:147
	v_pack_b32_f16 v25, v28, v33
	v_pack_b32_f16 v27, v29, v114
	v_add_nc_u32_e32 v28, 0x400, v35
	v_pack_b32_f16 v29, v32, v31
	v_pack_b32_f16 v30, v30, v34
	v_add_nc_u32_e32 v31, 0x800, v35
	v_perm_b32 v32, v99, v94, 0x5040100
	v_perm_b32 v33, v98, v95, 0x5040100
	v_add_nc_u32_e32 v34, 0xd00, v35
	v_perm_b32 v79, v97, v96, 0x5040100
	v_perm_b32 v80, v77, v26, 0x5040100
	v_add_nc_u32_e32 v81, 0x1200, v35
	v_perm_b32 v82, v78, v76, 0x5040100
	ds_store_2addr_b32 v28, v25, v27 offset0:38 offset1:185
	ds_store_2addr_b32 v31, v29, v30 offset0:76 offset1:223
	;; [unrolled: 1-line block ×4, first 2 shown]
	ds_store_b32 v35, v82 offset:5880
.LBB0_11:
	s_wait_alu 0xfffe
	s_or_b32 exec_lo, exec_lo, s1
	s_add_nc_u64 s[2:3], s[16:17], 0x1944
	global_wb scope:SCOPE_SE
	s_wait_dscnt 0x0
	s_barrier_signal -1
	s_barrier_wait -1
	global_inv scope:SCOPE_SE
	s_clause 0x5
	global_load_b32 v25, v[16:17], off offset:6468
	global_load_b32 v32, v35, s[2:3] offset:5236
	global_load_b32 v33, v35, s[2:3] offset:3080
	;; [unrolled: 1-line block ×5, first 2 shown]
	ds_load_2addr_b32 v[27:28], v35 offset1:231
	s_wait_dscnt 0x0
	v_lshrrev_b32_e32 v30, 16, v27
	v_lshrrev_b32_e32 v80, 16, v28
	s_wait_loadcnt 0x5
	v_lshrrev_b32_e32 v31, 16, v25
	s_wait_loadcnt 0x4
	v_lshrrev_b32_e32 v84, 16, v32
	s_wait_loadcnt 0x2
	v_lshrrev_b32_e32 v81, 16, v29
	v_mul_f16_e32 v82, v30, v31
	v_mul_f16_e32 v31, v27, v31
	s_delay_alu instid0(VALU_DEP_3) | instskip(SKIP_1) | instid1(VALU_DEP_4)
	v_mul_f16_e32 v83, v80, v81
	v_mul_f16_e32 v81, v28, v81
	v_fma_f16 v27, v27, v25, -v82
	s_delay_alu instid0(VALU_DEP_4)
	v_fmac_f16_e32 v31, v30, v25
	v_add_nc_u32_e32 v25, 0x840, v35
	v_fma_f16 v28, v28, v29, -v83
	v_fmac_f16_e32 v81, v80, v29
	v_lshrrev_b32_e32 v83, 16, v33
	v_pack_b32_f16 v29, v27, v31
	v_add_nc_u32_e32 v27, 0x1080, v35
	s_wait_loadcnt 0x0
	v_lshrrev_b32_e32 v82, 16, v79
	v_pack_b32_f16 v80, v28, v81
	v_lshrrev_b32_e32 v81, 16, v34
	ds_store_b32 v35, v29
	ds_load_2addr_b32 v[28:29], v25 offset0:11 offset1:242
	ds_load_2addr_b32 v[30:31], v27 offset0:22 offset1:253
	s_wait_dscnt 0x1
	v_lshrrev_b32_e32 v85, 16, v28
	v_lshrrev_b32_e32 v89, 16, v29
	s_wait_dscnt 0x0
	v_lshrrev_b32_e32 v87, 16, v30
	v_lshrrev_b32_e32 v91, 16, v31
	v_mul_f16_e32 v86, v28, v81
	v_mul_f16_e32 v90, v29, v83
	;; [unrolled: 1-line block ×8, first 2 shown]
	v_fmac_f16_e32 v86, v85, v34
	v_fmac_f16_e32 v90, v89, v33
	v_fma_f16 v28, v28, v34, -v81
	v_fma_f16 v29, v29, v33, -v83
	v_fmac_f16_e32 v88, v87, v79
	v_fmac_f16_e32 v92, v91, v32
	v_fma_f16 v30, v30, v79, -v82
	v_fma_f16 v31, v31, v32, -v84
	v_pack_b32_f16 v28, v28, v86
	v_pack_b32_f16 v29, v29, v90
	s_delay_alu instid0(VALU_DEP_4) | instskip(NEXT) | instid1(VALU_DEP_4)
	v_pack_b32_f16 v30, v30, v88
	v_pack_b32_f16 v31, v31, v92
	ds_store_b32 v35, v80 offset:924
	ds_store_2addr_b32 v25, v28, v29 offset0:11 offset1:242
	ds_store_2addr_b32 v27, v30, v31 offset0:22 offset1:253
	s_and_saveexec_b32 s1, vcc_lo
	s_cbranch_execz .LBB0_13
; %bb.12:
	s_wait_alu 0xfffe
	v_add_co_u32 v28, s2, s2, v35
	s_wait_alu 0xf1ff
	v_add_co_ci_u32_e64 v29, null, s3, 0, s2
	s_clause 0x2
	global_load_b32 v30, v[28:29], off offset:1848
	global_load_b32 v31, v[28:29], off offset:4004
	;; [unrolled: 1-line block ×3, first 2 shown]
	ds_load_b32 v29, v35 offset:1848
	ds_load_b32 v32, v35 offset:4004
	;; [unrolled: 1-line block ×3, first 2 shown]
	s_wait_dscnt 0x2
	v_lshrrev_b32_e32 v34, 16, v29
	s_wait_dscnt 0x1
	v_lshrrev_b32_e32 v80, 16, v32
	;; [unrolled: 2-line block ×3, first 2 shown]
	s_wait_loadcnt 0x2
	v_lshrrev_b32_e32 v79, 16, v30
	s_wait_loadcnt 0x1
	v_lshrrev_b32_e32 v81, 16, v31
	;; [unrolled: 2-line block ×3, first 2 shown]
	v_mul_f16_e32 v84, v34, v79
	v_mul_f16_e32 v79, v29, v79
	;; [unrolled: 1-line block ×6, first 2 shown]
	v_fma_f16 v29, v29, v30, -v84
	v_fmac_f16_e32 v79, v34, v30
	v_fma_f16 v30, v32, v31, -v85
	v_fmac_f16_e32 v81, v80, v31
	;; [unrolled: 2-line block ×3, first 2 shown]
	v_pack_b32_f16 v28, v29, v79
	s_delay_alu instid0(VALU_DEP_4) | instskip(NEXT) | instid1(VALU_DEP_3)
	v_pack_b32_f16 v29, v30, v81
	v_pack_b32_f16 v30, v31, v83
	ds_store_b32 v35, v28 offset:1848
	ds_store_b32 v35, v29 offset:4004
	;; [unrolled: 1-line block ×3, first 2 shown]
.LBB0_13:
	s_wait_alu 0xfffe
	s_or_b32 exec_lo, exec_lo, s1
	global_wb scope:SCOPE_SE
	s_wait_dscnt 0x0
	s_barrier_signal -1
	s_barrier_wait -1
	global_inv scope:SCOPE_SE
	ds_load_2addr_b32 v[31:32], v35 offset1:231
	ds_load_2addr_b32 v[33:34], v25 offset0:11 offset1:242
	ds_load_2addr_b32 v[29:30], v27 offset0:22 offset1:253
	s_and_saveexec_b32 s1, vcc_lo
	s_cbranch_execz .LBB0_15
; %bb.14:
	ds_load_b32 v94, v35 offset:1848
	ds_load_b32 v95, v35 offset:4004
	;; [unrolled: 1-line block ×3, first 2 shown]
	s_wait_dscnt 0x2
	v_lshrrev_b32_e32 v99, 16, v94
	s_wait_dscnt 0x1
	v_lshrrev_b32_e32 v98, 16, v95
	;; [unrolled: 2-line block ×3, first 2 shown]
.LBB0_15:
	s_wait_alu 0xfffe
	s_or_b32 exec_lo, exec_lo, s1
	v_add_f16_e32 v25, v95, v96
	s_delay_alu instid0(VALU_DEP_2)
	v_add_f16_e32 v27, v98, v97
	v_sub_f16_e32 v79, v98, v97
	v_sub_f16_e32 v81, v95, v96
	s_wait_dscnt 0x0
	v_pk_add_f16 v83, v33, v29
	v_fma_f16 v25, -0.5, v25, v94
	v_fma_f16 v80, -0.5, v27, v99
	v_pk_add_f16 v27, v31, v33
	v_pk_add_f16 v33, v33, v29 neg_lo:[0,1] neg_hi:[0,1]
	v_pk_add_f16 v82, v32, v34
	v_fmamk_f16 v28, v79, 0xbaee, v25
	v_fmac_f16_e32 v25, 0x3aee, v79
	v_fmamk_f16 v79, v81, 0x3aee, v80
	v_fmac_f16_e32 v80, 0xbaee, v81
	v_pk_add_f16 v81, v34, v30
	v_pk_add_f16 v34, v34, v30 neg_lo:[0,1] neg_hi:[0,1]
	v_pk_fma_f16 v31, v83, 0.5, v31 op_sel_hi:[1,0,1] neg_lo:[1,0,0] neg_hi:[1,0,0]
	v_pk_mul_f16 v33, 0x3aee, v33 op_sel_hi:[0,1]
	v_pk_add_f16 v27, v27, v29
	v_pk_fma_f16 v32, v81, 0.5, v32 op_sel_hi:[1,0,1] neg_lo:[1,0,0] neg_hi:[1,0,0]
	v_pk_mul_f16 v34, 0x3aee, v34 op_sel_hi:[0,1]
	v_pk_add_f16 v30, v82, v30
	v_pk_add_f16 v81, v31, v33 op_sel:[0,1] op_sel_hi:[1,0] neg_lo:[0,1] neg_hi:[0,1]
	v_pk_add_f16 v31, v31, v33 op_sel:[0,1] op_sel_hi:[1,0]
	global_wb scope:SCOPE_SE
	v_pk_add_f16 v33, v32, v34 op_sel:[0,1] op_sel_hi:[1,0] neg_lo:[0,1] neg_hi:[0,1]
	v_pk_add_f16 v32, v32, v34 op_sel:[0,1] op_sel_hi:[1,0]
	s_barrier_signal -1
	v_bfi_b32 v29, 0xffff, v81, v31
	v_bfi_b32 v31, 0xffff, v31, v81
	s_barrier_wait -1
	v_bfi_b32 v34, 0xffff, v33, v32
	v_bfi_b32 v32, 0xffff, v32, v33
	global_inv scope:SCOPE_SE
	ds_store_2addr_b32 v49, v27, v29 offset1:1
	ds_store_b32 v49, v31 offset:8
	ds_store_2addr_b32 v51, v30, v34 offset1:1
	ds_store_b32 v51, v32 offset:8
	s_and_saveexec_b32 s1, vcc_lo
	s_cbranch_execz .LBB0_17
; %bb.16:
	v_add_f16_e32 v27, v99, v98
	v_add_f16_e32 v29, v94, v95
	v_lshlrev_b32_e32 v30, 2, v50
	v_perm_b32 v31, v79, v28, 0x5040100
	s_delay_alu instid0(VALU_DEP_4) | instskip(NEXT) | instid1(VALU_DEP_4)
	v_add_f16_e32 v27, v27, v97
	v_add_f16_e32 v29, v29, v96
	s_delay_alu instid0(VALU_DEP_1)
	v_pack_b32_f16 v27, v29, v27
	v_perm_b32 v29, v80, v25, 0x5040100
	ds_store_2addr_b32 v30, v27, v31 offset1:1
	ds_store_b32 v30, v29 offset:8
.LBB0_17:
	s_wait_alu 0xfffe
	s_or_b32 exec_lo, exec_lo, s1
	global_wb scope:SCOPE_SE
	s_wait_dscnt 0x0
	s_barrier_signal -1
	s_barrier_wait -1
	global_inv scope:SCOPE_SE
	ds_load_2addr_b32 v[29:30], v35 offset1:231
	v_add_nc_u32_e32 v27, 0x700, v35
	v_add_nc_u32_e32 v49, 0xe40, v35
	ds_load_b32 v50, v35 offset:5544
	ds_load_2addr_b32 v[31:32], v27 offset0:14 offset1:245
	ds_load_2addr_b32 v[33:34], v49 offset0:12 offset1:243
	global_wb scope:SCOPE_SE
	s_wait_dscnt 0x0
	s_barrier_signal -1
	s_barrier_wait -1
	global_inv scope:SCOPE_SE
	v_lshrrev_b32_e32 v81, 16, v30
	v_mul_f16_e32 v83, v59, v30
	v_lshrrev_b32_e32 v51, 16, v29
	v_lshrrev_b32_e32 v82, 16, v50
	;; [unrolled: 1-line block ×6, first 2 shown]
	v_mul_f16_e32 v59, v59, v81
	v_mul_f16_e32 v84, v58, v50
	v_fma_f16 v81, v0, v81, -v83
	v_mul_f16_e32 v83, v57, v31
	v_mul_f16_e32 v89, v55, v32
	;; [unrolled: 1-line block ×5, first 2 shown]
	v_fmac_f16_e32 v59, v0, v30
	v_mul_f16_e32 v0, v57, v85
	v_mul_f16_e32 v55, v55, v86
	;; [unrolled: 1-line block ×4, first 2 shown]
	v_fma_f16 v30, v1, v85, -v83
	v_fma_f16 v57, v2, v86, -v89
	v_fmac_f16_e32 v0, v1, v31
	v_fmac_f16_e32 v55, v2, v32
	;; [unrolled: 1-line block ×4, first 2 shown]
	v_fma_f16 v1, v20, v82, -v84
	v_fma_f16 v2, v3, v87, -v90
	v_fmac_f16_e32 v54, v19, v34
	v_fma_f16 v3, v19, v88, -v91
	v_add_f16_e32 v19, v59, v58
	v_add_f16_e32 v20, v81, v1
	;; [unrolled: 1-line block ×5, first 2 shown]
	v_sub_f16_e32 v0, v0, v54
	v_sub_f16_e32 v3, v30, v3
	v_add_f16_e32 v30, v55, v56
	v_sub_f16_e32 v50, v56, v55
	v_sub_f16_e32 v2, v2, v57
	v_add_f16_e32 v54, v32, v19
	v_add_f16_e32 v55, v33, v20
	v_sub_f16_e32 v31, v59, v58
	v_sub_f16_e32 v1, v81, v1
	;; [unrolled: 1-line block ×8, first 2 shown]
	v_add_f16_e32 v58, v50, v0
	v_add_f16_e32 v59, v2, v3
	v_sub_f16_e32 v81, v50, v0
	v_sub_f16_e32 v82, v2, v3
	v_add_f16_e32 v30, v30, v54
	v_add_f16_e32 v34, v34, v55
	v_sub_f16_e32 v0, v0, v31
	v_sub_f16_e32 v3, v3, v1
	;; [unrolled: 1-line block ×4, first 2 shown]
	v_add_f16_e32 v31, v58, v31
	v_add_f16_e32 v1, v59, v1
	;; [unrolled: 1-line block ×4, first 2 shown]
	v_mul_f16_e32 v19, 0x3a52, v19
	v_mul_f16_e32 v20, 0x3a52, v20
	;; [unrolled: 1-line block ×8, first 2 shown]
	v_fmamk_f16 v30, v30, 0xbcab, v29
	v_fmamk_f16 v34, v34, 0xbcab, v51
	;; [unrolled: 1-line block ×4, first 2 shown]
	v_fma_f16 v54, v56, 0x39e0, -v54
	v_fma_f16 v55, v57, 0x39e0, -v55
	;; [unrolled: 1-line block ×4, first 2 shown]
	v_fmamk_f16 v56, v50, 0xb574, v58
	v_fmamk_f16 v57, v2, 0xb574, v59
	v_fma_f16 v0, v0, 0xbb00, -v58
	v_fma_f16 v3, v3, 0xbb00, -v59
	;; [unrolled: 1-line block ×4, first 2 shown]
	v_add_f16_e32 v32, v32, v30
	v_add_f16_e32 v33, v33, v34
	v_fmac_f16_e32 v56, 0xb70e, v31
	v_fmac_f16_e32 v57, 0xb70e, v1
	v_add_f16_e32 v54, v54, v30
	v_add_f16_e32 v55, v55, v34
	;; [unrolled: 1-line block ×4, first 2 shown]
	v_fmac_f16_e32 v0, 0xb70e, v31
	v_fmac_f16_e32 v2, 0xb70e, v1
	;; [unrolled: 1-line block ×4, first 2 shown]
	v_add_f16_e32 v1, v57, v32
	v_sub_f16_e32 v30, v33, v56
	v_add_f16_e32 v31, v2, v19
	v_sub_f16_e32 v34, v20, v50
	v_sub_f16_e32 v58, v54, v3
	v_add_f16_e32 v59, v0, v55
	v_add_f16_e32 v3, v3, v54
	v_sub_f16_e32 v0, v55, v0
	v_sub_f16_e32 v2, v19, v2
	v_add_f16_e32 v19, v50, v20
	v_sub_f16_e32 v20, v32, v57
	v_add_f16_e32 v32, v56, v33
	v_pack_b32_f16 v29, v29, v51
	v_pack_b32_f16 v1, v1, v30
	;; [unrolled: 1-line block ×7, first 2 shown]
	ds_store_2addr_b32 v52, v29, v1 offset1:3
	ds_store_2addr_b32 v52, v30, v31 offset0:6 offset1:9
	ds_store_2addr_b32 v52, v0, v2 offset0:12 offset1:15
	ds_store_b32 v52, v3 offset:72
	global_wb scope:SCOPE_SE
	s_wait_dscnt 0x0
	s_barrier_signal -1
	s_barrier_wait -1
	global_inv scope:SCOPE_SE
	ds_load_2addr_b32 v[0:1], v35 offset1:231
	ds_load_2addr_b32 v[2:3], v27 offset0:14 offset1:245
	ds_load_2addr_b32 v[19:20], v49 offset0:12 offset1:243
	ds_load_b32 v27, v35 offset:5544
	global_wb scope:SCOPE_SE
	s_wait_dscnt 0x0
	s_barrier_signal -1
	s_barrier_wait -1
	global_inv scope:SCOPE_SE
	v_lshrrev_b32_e32 v29, 16, v1
	v_lshrrev_b32_e32 v31, 16, v2
	;; [unrolled: 1-line block ×3, first 2 shown]
	v_mul_f16_e32 v34, v71, v1
	v_lshrrev_b32_e32 v49, 16, v19
	v_mul_f16_e32 v33, v71, v29
	v_lshrrev_b32_e32 v50, 16, v20
	v_lshrrev_b32_e32 v51, 16, v27
	v_mul_f16_e32 v52, v69, v3
	v_mul_f16_e32 v54, v65, v49
	v_fmac_f16_e32 v33, v4, v1
	v_fma_f16 v1, v4, v29, -v34
	v_mul_f16_e32 v4, v70, v31
	v_mul_f16_e32 v29, v70, v2
	;; [unrolled: 1-line block ×3, first 2 shown]
	v_fmac_f16_e32 v54, v7, v19
	v_mul_f16_e32 v19, v65, v19
	v_fmac_f16_e32 v4, v5, v2
	v_fma_f16 v2, v5, v31, -v29
	v_fmac_f16_e32 v34, v6, v3
	v_fma_f16 v3, v6, v32, -v52
	v_mul_f16_e32 v5, v66, v51
	v_mul_f16_e32 v6, v66, v27
	;; [unrolled: 1-line block ×4, first 2 shown]
	v_fma_f16 v7, v7, v49, -v19
	v_fmac_f16_e32 v5, v22, v27
	v_fma_f16 v6, v22, v51, -v6
	v_fmac_f16_e32 v29, v21, v20
	v_fma_f16 v19, v21, v50, -v31
	v_add_f16_e32 v27, v3, v7
	v_add_f16_e32 v20, v33, v5
	;; [unrolled: 1-line block ×3, first 2 shown]
	v_sub_f16_e32 v1, v1, v6
	v_add_f16_e32 v6, v4, v29
	v_add_f16_e32 v22, v2, v19
	v_sub_f16_e32 v4, v4, v29
	v_sub_f16_e32 v2, v2, v19
	v_add_f16_e32 v19, v34, v54
	v_sub_f16_e32 v29, v54, v34
	v_sub_f16_e32 v3, v7, v3
	v_add_f16_e32 v7, v6, v20
	v_add_f16_e32 v31, v22, v21
	v_sub_f16_e32 v5, v33, v5
	v_lshrrev_b32_e32 v30, 16, v0
	v_sub_f16_e32 v32, v6, v20
	v_sub_f16_e32 v33, v22, v21
	;; [unrolled: 1-line block ×6, first 2 shown]
	v_add_f16_e32 v6, v29, v4
	v_add_f16_e32 v49, v3, v2
	v_sub_f16_e32 v50, v29, v4
	v_sub_f16_e32 v51, v3, v2
	v_add_f16_e32 v7, v19, v7
	v_add_f16_e32 v19, v27, v31
	v_sub_f16_e32 v4, v4, v5
	v_sub_f16_e32 v2, v2, v1
	;; [unrolled: 1-line block ×4, first 2 shown]
	v_add_f16_e32 v5, v6, v5
	v_add_f16_e32 v1, v49, v1
	;; [unrolled: 1-line block ×4, first 2 shown]
	v_mul_f16_e32 v20, 0x3a52, v20
	v_mul_f16_e32 v21, 0x3a52, v21
	;; [unrolled: 1-line block ×8, first 2 shown]
	v_fmamk_f16 v7, v7, 0xbcab, v0
	v_fmamk_f16 v19, v19, 0xbcab, v6
	;; [unrolled: 1-line block ×4, first 2 shown]
	v_fma_f16 v27, v32, 0x39e0, -v27
	v_fma_f16 v30, v33, 0x39e0, -v30
	;; [unrolled: 1-line block ×4, first 2 shown]
	v_fmamk_f16 v32, v29, 0xb574, v31
	v_fmamk_f16 v33, v3, 0xb574, v49
	v_fma_f16 v31, v4, 0xbb00, -v31
	v_fma_f16 v2, v2, 0xbb00, -v49
	;; [unrolled: 1-line block ×4, first 2 shown]
	v_add_f16_e32 v34, v34, v7
	v_add_f16_e32 v50, v22, v19
	v_fmac_f16_e32 v32, 0xb70e, v5
	v_fmac_f16_e32 v33, 0xb70e, v1
	v_add_f16_e32 v27, v27, v7
	v_add_f16_e32 v30, v30, v19
	;; [unrolled: 1-line block ×4, first 2 shown]
	v_fmac_f16_e32 v31, 0xb70e, v5
	v_fmac_f16_e32 v3, 0xb70e, v1
	;; [unrolled: 1-line block ×4, first 2 shown]
	v_add_f16_e32 v1, v33, v34
	v_sub_f16_e32 v29, v50, v32
	v_add_f16_e32 v4, v3, v7
	v_sub_f16_e32 v22, v19, v49
	v_sub_f16_e32 v5, v27, v2
	v_add_f16_e32 v21, v31, v30
	v_add_f16_e32 v2, v2, v27
	v_sub_f16_e32 v20, v30, v31
	v_sub_f16_e32 v3, v7, v3
	v_add_f16_e32 v7, v49, v19
	v_sub_f16_e32 v27, v34, v33
	v_add_f16_e32 v19, v32, v50
	v_pack_b32_f16 v30, v0, v6
	v_pack_b32_f16 v31, v1, v29
	;; [unrolled: 1-line block ×7, first 2 shown]
	ds_store_2addr_b32 v53, v30, v31 offset1:21
	ds_store_2addr_b32 v53, v32, v33 offset0:42 offset1:63
	ds_store_2addr_b32 v53, v34, v49 offset0:84 offset1:105
	ds_store_b32 v53, v50 offset:504
	global_wb scope:SCOPE_SE
	s_wait_dscnt 0x0
	s_barrier_signal -1
	s_barrier_wait -1
	global_inv scope:SCOPE_SE
	s_and_saveexec_b32 s1, s0
	s_cbranch_execz .LBB0_19
; %bb.18:
	v_add_nc_u32_e32 v2, 0x400, v35
	v_add_nc_u32_e32 v3, 0x800, v35
	;; [unrolled: 1-line block ×4, first 2 shown]
	ds_load_2addr_b32 v[0:1], v35 offset1:147
	ds_load_2addr_b32 v[4:5], v2 offset0:38 offset1:185
	ds_load_2addr_b32 v[2:3], v3 offset0:76 offset1:223
	;; [unrolled: 1-line block ×4, first 2 shown]
	ds_load_b32 v76, v35 offset:5880
	s_wait_dscnt 0x3
	v_lshrrev_b32_e32 v20, 16, v2
	v_lshrrev_b32_e32 v6, 16, v0
	;; [unrolled: 1-line block ×6, first 2 shown]
	s_wait_dscnt 0x2
	v_lshrrev_b32_e32 v19, 16, v27
	v_lshrrev_b32_e32 v79, 16, v28
	s_wait_dscnt 0x1
	v_lshrrev_b32_e32 v80, 16, v25
	v_lshrrev_b32_e32 v77, 16, v26
	s_wait_dscnt 0x0
	v_lshrrev_b32_e32 v78, 16, v76
.LBB0_19:
	s_wait_alu 0xfffe
	s_or_b32 exec_lo, exec_lo, s1
	s_and_saveexec_b32 s1, s0
	s_cbranch_execz .LBB0_21
; %bb.20:
	v_mul_f16_e32 v30, v75, v76
	v_mul_f16_e32 v31, v74, v1
	;; [unrolled: 1-line block ×5, first 2 shown]
	v_fma_f16 v30, v24, v78, -v30
	v_fma_f16 v31, v12, v29, -v31
	v_mul_f16_e32 v29, v74, v29
	v_fma_f16 v32, v23, v77, -v32
	v_fma_f16 v33, v13, v22, -v33
	v_mul_f16_e32 v22, v72, v22
	v_add_f16_e32 v49, v30, v31
	v_mul_f16_e32 v50, v73, v77
	v_fmac_f16_e32 v29, v12, v1
	v_fmac_f16_e32 v34, v24, v76
	v_add_f16_e32 v12, v32, v33
	v_fmac_f16_e32 v22, v13, v4
	v_fmac_f16_e32 v50, v23, v26
	v_mul_f16_e32 v4, 0xbbad, v49
	v_sub_f16_e32 v13, v29, v34
	v_mul_f16_e32 v23, 0x3abb, v12
	v_mul_f16_e32 v52, v68, v5
	v_sub_f16_e32 v1, v22, v50
	v_mul_f16_e32 v53, v68, v21
	v_fmamk_f16 v24, v13, 0x3482, v4
	v_mul_f16_e32 v51, v67, v25
	v_fma_f16 v21, v14, v21, -v52
	v_fmamk_f16 v26, v1, 0xb853, v23
	v_mul_f16_e32 v54, v62, v2
	v_add_f16_e32 v24, v6, v24
	v_fmac_f16_e32 v53, v14, v5
	v_mul_f16_e32 v14, v62, v20
	v_fma_f16 v51, v11, v80, -v51
	v_sub_f16_e32 v57, v31, v30
	v_add_f16_e32 v24, v26, v24
	v_mul_f16_e32 v26, v67, v80
	v_fmac_f16_e32 v14, v15, v2
	v_mul_f16_e32 v52, v63, v28
	v_mul_f16_e32 v2, v61, v27
	v_add_f16_e32 v58, v34, v29
	v_fmac_f16_e32 v26, v11, v25
	v_fma_f16 v11, v15, v20, -v54
	v_mul_f16_e32 v15, v60, v3
	v_mul_f16_e32 v20, v63, v79
	v_sub_f16_e32 v63, v33, v32
	v_mul_f16_e32 v86, 0xbbeb, v57
	v_fma_f16 v5, v10, v79, -v52
	v_fma_f16 v15, v8, v7, -v15
	v_mul_f16_e32 v7, v60, v7
	v_fma_f16 v2, v9, v19, -v2
	v_mul_f16_e32 v19, v61, v19
	v_add_f16_e32 v61, v50, v22
	v_fmamk_f16 v90, v58, 0xb08e, v86
	v_fmac_f16_e32 v7, v8, v3
	v_sub_f16_e32 v3, v21, v51
	v_mul_f16_e32 v91, 0x3482, v63
	v_fmac_f16_e32 v20, v10, v28
	v_fmac_f16_e32 v19, v9, v27
	v_add_f16_e32 v27, v26, v53
	v_sub_f16_e32 v66, v11, v5
	v_add_f16_e32 v90, v0, v90
	v_fmamk_f16 v93, v61, 0xbbad, v91
	v_mul_f16_e32 v94, 0x3b47, v3
	v_add_f16_e32 v55, v51, v21
	v_mul_f16_e32 v59, 0xb482, v57
	v_add_f16_e32 v68, v20, v14
	v_add_f16_e32 v90, v93, v90
	v_fmamk_f16 v93, v27, 0x36a6, v94
	v_mul_f16_e32 v96, 0xb853, v66
	v_mul_f16_e32 v25, 0xb93d, v55
	v_sub_f16_e32 v52, v53, v26
	v_add_f16_e32 v54, v5, v11
	v_fmamk_f16 v60, v58, 0xbbad, v59
	v_mul_f16_e32 v64, 0x3853, v63
	v_add_f16_e32 v90, v93, v90
	v_fmamk_f16 v93, v68, 0x3abb, v96
	v_add_f16_e32 v29, v0, v29
	v_add_f16_e32 v31, v31, v6
	v_fmamk_f16 v10, v52, 0x3a0c, v25
	v_mul_f16_e32 v28, 0x36a6, v54
	v_sub_f16_e32 v56, v14, v20
	v_add_f16_e32 v62, v2, v15
	v_add_f16_e32 v8, v0, v60
	v_fmamk_f16 v9, v61, 0x3abb, v64
	v_mul_f16_e32 v60, 0xba0c, v3
	v_mul_f16_e32 v74, 0xba0c, v57
	v_add_f16_e32 v90, v93, v90
	v_mul_f16_e32 v93, 0xbb47, v57
	v_mul_f16_e32 v57, 0xb853, v57
	v_add_f16_e32 v22, v22, v29
	v_add_f16_e32 v29, v33, v31
	;; [unrolled: 1-line block ×3, first 2 shown]
	v_fmamk_f16 v24, v56, 0xbb47, v28
	v_mul_f16_e32 v65, 0xb08e, v62
	v_sub_f16_e32 v67, v7, v19
	v_add_f16_e32 v8, v9, v8
	v_fmamk_f16 v9, v27, 0xb93d, v60
	v_mul_f16_e32 v69, 0x3b47, v66
	v_fmamk_f16 v31, v58, 0x3abb, v57
	v_mul_f16_e32 v33, 0xbb47, v63
	v_add_f16_e32 v22, v53, v22
	v_add_f16_e32 v21, v21, v29
	;; [unrolled: 1-line block ×3, first 2 shown]
	v_fmamk_f16 v24, v67, 0x3beb, v65
	v_add_f16_e32 v8, v9, v8
	v_fmamk_f16 v9, v68, 0x36a6, v69
	v_mul_f16_e32 v70, 0xb93d, v49
	v_mul_f16_e32 v82, 0xb853, v3
	;; [unrolled: 1-line block ×3, first 2 shown]
	v_add_f16_e32 v29, v0, v31
	v_fmamk_f16 v31, v61, 0x36a6, v33
	v_mul_f16_e32 v3, 0xbbeb, v3
	v_add_f16_e32 v14, v14, v22
	v_add_f16_e32 v11, v11, v21
	;; [unrolled: 1-line block ×3, first 2 shown]
	v_sub_f16_e32 v24, v15, v2
	v_add_f16_e32 v8, v9, v8
	v_fmamk_f16 v9, v13, 0x3a0c, v70
	v_mul_f16_e32 v71, 0xb08e, v12
	v_add_f16_e32 v72, v19, v7
	v_add_f16_e32 v22, v31, v29
	v_fmamk_f16 v29, v27, 0xb08e, v3
	v_add_f16_e32 v7, v7, v14
	v_add_f16_e32 v11, v15, v11
	v_mul_f16_e32 v15, 0xba0c, v66
	v_add_f16_e32 v9, v6, v9
	v_fmamk_f16 v75, v1, 0xbbeb, v71
	v_mul_f16_e32 v76, 0x3abb, v55
	v_add_f16_e32 v22, v29, v22
	v_add_f16_e32 v7, v19, v7
	;; [unrolled: 1-line block ×3, first 2 shown]
	v_fmamk_f16 v11, v68, 0xb93d, v15
	v_mul_f16_e32 v19, 0xb482, v24
	v_add_f16_e32 v9, v75, v9
	v_fmamk_f16 v75, v52, 0x3853, v76
	v_mul_f16_e32 v80, 0xbbad, v54
	v_add_f16_e32 v2, v5, v2
	v_add_f16_e32 v5, v11, v22
	v_fmamk_f16 v11, v72, 0xbbad, v19
	v_mul_f16_e32 v73, 0xbbeb, v24
	v_add_f16_e32 v9, v75, v9
	v_fmamk_f16 v75, v56, 0x3482, v80
	v_mul_f16_e32 v83, 0x36a6, v62
	v_add_f16_e32 v5, v11, v5
	v_fma_f16 v11, v58, 0xbbad, -v59
	v_fmamk_f16 v77, v72, 0xb08e, v73
	v_fmamk_f16 v78, v58, 0xb93d, v74
	v_mul_f16_e32 v79, 0x3beb, v63
	v_add_f16_e32 v9, v75, v9
	v_fmamk_f16 v75, v67, 0xbb47, v83
	v_mul_f16_e32 v85, 0xb08e, v49
	v_add_f16_e32 v7, v20, v7
	v_add_f16_e32 v11, v0, v11
	v_fma_f16 v20, v61, 0x3abb, -v64
	v_add_f16_e32 v78, v0, v78
	v_fmamk_f16 v81, v61, 0xb08e, v79
	v_add_f16_e32 v8, v77, v8
	v_add_f16_e32 v9, v75, v9
	v_fmamk_f16 v75, v13, 0x3beb, v85
	v_mul_f16_e32 v77, 0xbbad, v12
	v_add_f16_e32 v11, v20, v11
	v_fma_f16 v20, v27, 0xb93d, -v60
	v_add_f16_e32 v78, v81, v78
	v_fmamk_f16 v81, v27, 0x3abb, v82
	v_mul_f16_e32 v84, 0xb482, v66
	v_add_f16_e32 v75, v6, v75
	v_fmamk_f16 v87, v1, 0xb482, v77
	v_mul_f16_e32 v88, 0x36a6, v55
	v_fmac_f16_e32 v4, 0xb482, v13
	v_add_f16_e32 v11, v20, v11
	v_fma_f16 v20, v68, 0x36a6, -v69
	v_add_f16_e32 v78, v81, v78
	v_fmamk_f16 v81, v68, 0xbbad, v84
	v_add_f16_e32 v75, v87, v75
	v_fmamk_f16 v87, v52, 0xbb47, v88
	v_mul_f16_e32 v92, 0x3abb, v54
	v_add_f16_e32 v4, v6, v4
	v_fmac_f16_e32 v23, 0x3853, v1
	v_add_f16_e32 v11, v20, v11
	v_fma_f16 v20, v72, 0xb08e, -v73
	v_add_f16_e32 v78, v81, v78
	v_mul_f16_e32 v81, 0x3b47, v24
	v_add_f16_e32 v75, v87, v75
	v_fmamk_f16 v87, v56, 0x3853, v92
	v_add_f16_e32 v4, v23, v4
	v_fmac_f16_e32 v25, 0xba0c, v52
	v_add_f16_e32 v11, v20, v11
	v_fma_f16 v20, v58, 0xb08e, -v86
	v_fmamk_f16 v101, v58, 0x36a6, v93
	v_mul_f16_e32 v102, 0xba0c, v63
	v_fmamk_f16 v89, v72, 0x36a6, v81
	v_mul_f16_e32 v95, 0xb93d, v62
	v_add_f16_e32 v75, v87, v75
	v_mul_f16_e32 v87, 0x36a6, v49
	v_add_f16_e32 v4, v25, v4
	v_fma_f16 v23, v58, 0xb93d, -v74
	v_add_f16_e32 v20, v0, v20
	v_fma_f16 v25, v61, 0xbbad, -v91
	v_add_f16_e32 v101, v0, v101
	v_fmamk_f16 v104, v61, 0xb93d, v102
	v_fmamk_f16 v97, v67, 0x3a0c, v95
	v_add_f16_e32 v78, v89, v78
	v_fmamk_f16 v89, v13, 0x3b47, v87
	v_mul_f16_e32 v98, 0xb93d, v12
	v_mul_f16_e32 v100, 0xba0c, v24
	;; [unrolled: 1-line block ×3, first 2 shown]
	v_fmac_f16_e32 v28, 0x3b47, v56
	v_add_f16_e32 v23, v0, v23
	v_fma_f16 v24, v61, 0xb08e, -v79
	v_fmac_f16_e32 v87, 0xbb47, v13
	v_add_f16_e32 v20, v25, v20
	v_fma_f16 v25, v27, 0x36a6, -v94
	v_add_f16_e32 v101, v104, v101
	v_fmamk_f16 v104, v27, 0xbbad, v105
	v_mul_f16_e32 v107, 0x3beb, v66
	v_mul_f16_e32 v49, 0x3abb, v49
	v_add_f16_e32 v75, v97, v75
	v_add_f16_e32 v89, v6, v89
	v_fmamk_f16 v97, v1, 0x3a0c, v98
	v_mul_f16_e32 v99, 0xbbad, v55
	v_add_f16_e32 v4, v28, v4
	v_add_f16_e32 v23, v24, v23
	v_fma_f16 v24, v27, 0x3abb, -v82
	v_add_f16_e32 v28, v6, v87
	v_fmac_f16_e32 v98, 0xba0c, v1
	v_add_f16_e32 v20, v25, v20
	v_fma_f16 v25, v68, 0x3abb, -v96
	v_add_f16_e32 v101, v104, v101
	v_fmamk_f16 v104, v68, 0xb08e, v107
	v_fmamk_f16 v109, v13, 0x3853, v49
	v_mul_f16_e32 v12, 0x36a6, v12
	v_add_f16_e32 v89, v97, v89
	v_fmamk_f16 v97, v52, 0xb482, v99
	v_mul_f16_e32 v103, 0xb08e, v54
	v_add_f16_e32 v23, v24, v23
	v_fma_f16 v24, v68, 0xbbad, -v84
	v_add_f16_e32 v28, v98, v28
	v_fmac_f16_e32 v99, 0x3482, v52
	v_add_f16_e32 v20, v25, v20
	v_fma_f16 v25, v72, 0xb93d, -v100
	v_fmamk_f16 v106, v72, 0xb93d, v100
	v_add_f16_e32 v101, v104, v101
	v_fmamk_f16 v104, v72, 0x3abb, v108
	v_add_f16_e32 v109, v6, v109
	v_fmamk_f16 v111, v1, 0x3b47, v12
	v_mul_f16_e32 v55, 0xb08e, v55
	v_fmac_f16_e32 v70, 0xba0c, v13
	v_add_f16_e32 v89, v97, v89
	v_fmamk_f16 v97, v56, 0xbbeb, v103
	v_add_f16_e32 v7, v26, v7
	v_fmac_f16_e32 v85, 0xbbeb, v13
	v_add_f16_e32 v23, v24, v23
	v_fma_f16 v26, v72, 0x36a6, -v81
	v_add_f16_e32 v28, v99, v28
	v_fmac_f16_e32 v103, 0x3beb, v56
	v_add_f16_e32 v20, v25, v20
	v_fma_f16 v25, v58, 0x36a6, -v93
	v_fmac_f16_e32 v49, 0xb853, v13
	v_fma_f16 v13, v58, 0x3abb, -v57
	v_add_f16_e32 v90, v106, v90
	v_add_f16_e32 v101, v104, v101
	;; [unrolled: 1-line block ×3, first 2 shown]
	v_fmamk_f16 v106, v52, 0x3beb, v55
	v_mul_f16_e32 v54, 0xb93d, v54
	v_add_f16_e32 v22, v6, v70
	v_fmac_f16_e32 v71, 0x3beb, v1
	v_add_f16_e32 v24, v6, v85
	v_fmac_f16_e32 v77, 0x3482, v1
	v_add_f16_e32 v23, v26, v23
	v_add_f16_e32 v26, v103, v28
	;; [unrolled: 1-line block ×3, first 2 shown]
	v_fma_f16 v28, v61, 0xb93d, -v102
	v_add_f16_e32 v6, v6, v49
	v_fmac_f16_e32 v12, 0xbb47, v1
	v_add_f16_e32 v0, v0, v13
	v_fma_f16 v1, v61, 0x36a6, -v33
	v_add_f16_e32 v104, v106, v104
	v_fmamk_f16 v106, v56, 0x3a0c, v54
	v_mul_f16_e32 v21, 0xbbad, v62
	v_add_f16_e32 v2, v51, v2
	v_add_f16_e32 v22, v71, v22
	v_fmac_f16_e32 v76, 0xb853, v52
	v_add_f16_e32 v24, v77, v24
	v_fmac_f16_e32 v88, 0x3b47, v52
	v_add_f16_e32 v13, v28, v25
	v_fma_f16 v25, v27, 0xbbad, -v105
	v_add_f16_e32 v6, v12, v6
	v_fmac_f16_e32 v55, 0xbbeb, v52
	v_add_f16_e32 v0, v1, v0
	v_fma_f16 v1, v27, 0xb08e, -v3
	v_add_f16_e32 v89, v97, v89
	v_mul_f16_e32 v97, 0x3abb, v62
	v_add_f16_e32 v63, v106, v104
	v_fmamk_f16 v14, v67, 0x3482, v21
	v_add_f16_e32 v7, v50, v7
	v_add_f16_e32 v2, v32, v2
	;; [unrolled: 1-line block ×3, first 2 shown]
	v_fmac_f16_e32 v80, 0xb482, v56
	v_add_f16_e32 v24, v88, v24
	v_fmac_f16_e32 v92, 0xb853, v56
	v_add_f16_e32 v3, v25, v13
	v_fma_f16 v12, v68, 0xb08e, -v107
	v_add_f16_e32 v6, v55, v6
	v_fmac_f16_e32 v54, 0xba0c, v56
	v_add_f16_e32 v0, v1, v0
	v_fma_f16 v1, v68, 0xb93d, -v15
	v_fmamk_f16 v110, v67, 0xb853, v97
	v_add_f16_e32 v14, v14, v63
	v_add_f16_e32 v7, v34, v7
	;; [unrolled: 1-line block ×3, first 2 shown]
	v_fmac_f16_e32 v65, 0xbbeb, v67
	v_add_f16_e32 v22, v80, v22
	v_fmac_f16_e32 v83, 0x3b47, v67
	v_add_f16_e32 v24, v92, v24
	v_fmac_f16_e32 v95, 0xba0c, v67
	v_fmac_f16_e32 v97, 0x3853, v67
	v_add_f16_e32 v3, v12, v3
	v_fma_f16 v12, v72, 0x3abb, -v108
	v_add_f16_e32 v6, v54, v6
	v_fmac_f16_e32 v21, 0xb482, v67
	v_add_f16_e32 v0, v1, v0
	v_fma_f16 v1, v72, 0xbbad, -v19
	v_add_f16_e32 v89, v110, v89
	v_pack_b32_f16 v2, v7, v2
	v_pack_b32_f16 v5, v5, v14
	v_add_f16_e32 v4, v65, v4
	v_add_f16_e32 v22, v83, v22
	v_add_f16_e32 v24, v95, v24
	v_add_f16_e32 v7, v97, v26
	v_add_f16_e32 v3, v12, v3
	v_add_f16_e32 v6, v21, v6
	v_add_f16_e32 v0, v1, v0
	ds_store_2addr_b32 v35, v2, v5 offset1:147
	v_pack_b32_f16 v1, v101, v89
	v_pack_b32_f16 v2, v90, v75
	v_add_nc_u32_e32 v5, 0x400, v35
	v_pack_b32_f16 v9, v78, v9
	v_pack_b32_f16 v8, v8, v10
	v_add_nc_u32_e32 v10, 0x800, v35
	;; [unrolled: 3-line block ×4, first 2 shown]
	v_pack_b32_f16 v0, v0, v6
	ds_store_2addr_b32 v5, v1, v2 offset0:38 offset1:185
	ds_store_2addr_b32 v10, v9, v8 offset0:76 offset1:223
	;; [unrolled: 1-line block ×4, first 2 shown]
	ds_store_b32 v35, v0 offset:5880
.LBB0_21:
	s_wait_alu 0xfffe
	s_or_b32 exec_lo, exec_lo, s1
	global_wb scope:SCOPE_SE
	s_wait_dscnt 0x0
	s_barrier_signal -1
	s_barrier_wait -1
	global_inv scope:SCOPE_SE
	ds_load_2addr_b32 v[4:5], v35 offset1:231
	v_add_nc_u32_e32 v0, 0x840, v35
	s_mov_b32 s6, 0x929a339d
	s_mov_b32 s7, 0x3f4443c2
	v_mad_co_u64_u32 v[21:22], null, s8, v42, 0
	ds_load_2addr_b32 v[2:3], v0 offset0:11 offset1:242
	v_add_nc_u32_e32 v0, 0x1080, v35
	ds_load_2addr_b32 v[0:1], v0 offset0:22 offset1:253
	s_wait_dscnt 0x2
	v_lshrrev_b32_e32 v6, 16, v4
	v_mul_f16_e32 v7, v48, v4
	s_delay_alu instid0(VALU_DEP_2) | instskip(NEXT) | instid1(VALU_DEP_2)
	v_mul_f16_e32 v8, v48, v6
	v_fma_f16 v6, v44, v6, -v7
	s_wait_dscnt 0x1
	v_lshrrev_b32_e32 v10, 16, v2
	v_mul_f16_e32 v9, v47, v2
	v_fmac_f16_e32 v8, v44, v4
	v_cvt_f32_f16_e32 v4, v6
	s_wait_dscnt 0x0
	v_lshrrev_b32_e32 v19, 16, v0
	v_mul_f16_e32 v12, v47, v10
	v_cvt_f32_f16_e32 v8, v8
	v_cvt_f64_f32_e32 v[6:7], v4
	v_fma_f16 v4, v46, v10, -v9
	v_mul_f16_e32 v13, v45, v19
	v_fmac_f16_e32 v12, v46, v2
	v_cvt_f64_f32_e32 v[8:9], v8
	s_delay_alu instid0(VALU_DEP_4) | instskip(NEXT) | instid1(VALU_DEP_4)
	v_cvt_f32_f16_e32 v4, v4
	v_fmac_f16_e32 v13, v43, v0
	s_delay_alu instid0(VALU_DEP_4) | instskip(SKIP_1) | instid1(VALU_DEP_4)
	v_cvt_f32_f16_e32 v2, v12
	v_mul_f16_e32 v0, v45, v0
	v_cvt_f64_f32_e32 v[10:11], v4
	s_delay_alu instid0(VALU_DEP_4) | instskip(NEXT) | instid1(VALU_DEP_4)
	v_cvt_f32_f16_e32 v4, v13
	v_cvt_f64_f32_e32 v[12:13], v2
	s_delay_alu instid0(VALU_DEP_4) | instskip(SKIP_1) | instid1(VALU_DEP_4)
	v_fma_f16 v0, v43, v19, -v0
	v_mad_co_u64_u32 v[19:20], null, s10, v18, 0
	v_cvt_f64_f32_e32 v[14:15], v4
	v_mov_b32_e32 v2, v22
	s_delay_alu instid0(VALU_DEP_4) | instskip(NEXT) | instid1(VALU_DEP_1)
	v_cvt_f32_f16_e32 v0, v0
	v_cvt_f64_f32_e32 v[23:24], v0
	v_mov_b32_e32 v0, v20
	s_delay_alu instid0(VALU_DEP_1) | instskip(SKIP_4) | instid1(VALU_DEP_4)
	v_mad_co_u64_u32 v[25:26], null, s11, v18, v[0:1]
	v_mad_co_u64_u32 v[26:27], null, s9, v42, v[2:3]
	v_lshrrev_b32_e32 v0, 16, v5
	s_wait_alu 0xfffe
	v_mul_f64_e32 v[6:7], s[6:7], v[6:7]
	v_mov_b32_e32 v20, v25
	s_delay_alu instid0(VALU_DEP_3) | instskip(SKIP_2) | instid1(VALU_DEP_4)
	v_mul_f16_e32 v2, v41, v0
	v_mov_b32_e32 v22, v26
	v_mul_f64_e32 v[8:9], s[6:7], v[8:9]
	v_lshlrev_b64_e32 v[18:19], 2, v[19:20]
	s_delay_alu instid0(VALU_DEP_4) | instskip(NEXT) | instid1(VALU_DEP_4)
	v_fmac_f16_e32 v2, v40, v5
	v_lshlrev_b64_e32 v[20:21], 2, v[21:22]
	v_mul_f64_e32 v[10:11], s[6:7], v[10:11]
	s_delay_alu instid0(VALU_DEP_4)
	v_add_co_u32 v4, s0, s4, v18
	v_mul_f64_e32 v[12:13], s[6:7], v[12:13]
	s_wait_alu 0xf1ff
	v_add_co_ci_u32_e64 v19, s0, s5, v19, s0
	v_mul_f64_e32 v[14:15], s[6:7], v[14:15]
	v_cvt_f32_f16_e32 v2, v2
	v_add_co_u32 v18, s0, v4, v20
	s_wait_alu 0xf1ff
	v_add_co_ci_u32_e64 v19, s0, v19, v21, s0
	s_delay_alu instid0(VALU_DEP_3)
	v_cvt_f64_f32_e32 v[20:21], v2
	v_mul_f64_e32 v[22:23], s[6:7], v[23:24]
	v_and_or_b32 v2, 0x1ff, v7, v6
	v_lshrrev_b32_e32 v4, 8, v7
	v_bfe_u32 v6, v7, 20, 11
	v_lshrrev_b32_e32 v7, 16, v7
	v_and_or_b32 v8, 0x1ff, v9, v8
	v_cmp_ne_u32_e64 s0, 0, v2
	v_bfe_u32 v25, v9, 20, 11
	v_lshrrev_b32_e32 v24, 8, v9
	v_sub_nc_u32_e32 v26, 0x3f1, v6
	v_add_nc_u32_e32 v6, 0xfffffc10, v6
	s_wait_alu 0xf1ff
	v_cndmask_b32_e64 v2, 0, 1, s0
	v_and_or_b32 v10, 0x1ff, v11, v10
	v_cmp_ne_u32_e64 s0, 0, v8
	v_sub_nc_u32_e32 v29, 0x3f1, v25
	v_and_or_b32 v12, 0x1ff, v13, v12
	v_and_or_b32 v2, 0xffe, v4, v2
	v_med3_i32 v4, v26, 0, 13
	s_wait_alu 0xf1ff
	v_cndmask_b32_e64 v8, 0, 1, s0
	v_cmp_ne_u32_e64 s0, 0, v10
	v_and_or_b32 v14, 0x1ff, v15, v14
	v_lshl_or_b32 v34, v6, 12, v2
	v_lshrrev_b32_e32 v27, 8, v11
	v_and_or_b32 v8, 0xffe, v24, v8
	s_wait_alu 0xf1ff
	v_cndmask_b32_e64 v10, 0, 1, s0
	v_cmp_ne_u32_e64 s0, 0, v2
	v_med3_i32 v24, v29, 0, 13
	v_or_b32_e32 v29, 0x1000, v2
	v_bfe_u32 v28, v11, 20, 11
	v_bfe_u32 v30, v13, 20, 11
	s_wait_alu 0xf1ff
	v_cndmask_b32_e64 v2, 0, 1, s0
	v_cmp_ne_u32_e64 s0, 0, v12
	v_lshrrev_b32_e32 v32, 8, v15
	v_or_b32_e32 v43, 0x1000, v8
	v_lshrrev_b32_e32 v45, v4, v29
	v_add_nc_u32_e32 v25, 0xfffffc10, v25
	s_wait_alu 0xf1ff
	v_cndmask_b32_e64 v12, 0, 1, s0
	v_cmp_ne_u32_e64 s0, 0, v14
	v_lshrrev_b32_e32 v26, 8, v13
	v_sub_nc_u32_e32 v31, 0x3f1, v28
	v_sub_nc_u32_e32 v42, 0x3f1, v30
	v_and_or_b32 v10, 0xffe, v27, v10
	s_wait_alu 0xf1ff
	v_cndmask_b32_e64 v14, 0, 1, s0
	v_cmp_ne_u32_e64 s0, 0, v8
	v_lshlrev_b32_e32 v4, v4, v45
	v_med3_i32 v27, v31, 0, 13
	v_lshl_or_b32 v44, v25, 12, v8
	v_and_or_b32 v14, 0xffe, v32, v14
	v_lshrrev_b32_e32 v32, v24, v43
	s_wait_alu 0xf1ff
	v_cndmask_b32_e64 v8, 0, 1, s0
	v_and_or_b32 v12, 0xffe, v26, v12
	v_med3_i32 v26, v42, 0, 13
	v_or_b32_e32 v42, 0x1000, v10
	v_lshlrev_b32_e32 v24, v24, v32
	v_cmp_ne_u32_e64 s0, v4, v29
	v_add_nc_u32_e32 v30, 0xfffffc10, v30
	v_or_b32_e32 v47, 0x1000, v12
	v_lshrrev_b32_e32 v49, v27, v42
	v_add_nc_u32_e32 v28, 0xfffffc10, v28
	s_wait_alu 0xf1ff
	v_cndmask_b32_e64 v4, 0, 1, s0
	v_cmp_ne_u32_e64 s0, v24, v43
	v_lshl_or_b32 v48, v30, 12, v12
	v_lshlrev_b32_e32 v27, v27, v49
	v_lshrrev_b32_e32 v29, v26, v47
	v_or_b32_e32 v4, v45, v4
	s_wait_alu 0xf1ff
	v_cndmask_b32_e64 v24, 0, 1, s0
	v_cmp_ne_u32_e64 s0, 0, v12
	v_lshl_or_b32 v46, v28, 12, v10
	v_lshlrev_b32_e32 v26, v26, v29
	v_cmp_gt_i32_e64 s4, 1, v30
	v_or_b32_e32 v24, v32, v24
	s_wait_alu 0xf1ff
	v_cndmask_b32_e64 v12, 0, 1, s0
	v_cmp_ne_u32_e64 s0, v27, v42
	v_lshl_or_b32 v8, v8, 9, 0x7c00
	v_lshrrev_b32_e32 v9, 16, v9
	v_lshl_or_b32 v2, v2, 9, 0x7c00
	v_bfe_u32 v33, v15, 20, 11
	s_wait_alu 0xf1ff
	v_cndmask_b32_e64 v27, 0, 1, s0
	v_cmp_gt_i32_e64 s0, 1, v6
	s_delay_alu instid0(VALU_DEP_3) | instskip(NEXT) | instid1(VALU_DEP_3)
	v_sub_nc_u32_e32 v31, 0x3f1, v33
	v_or_b32_e32 v27, v49, v27
	s_wait_alu 0xf1ff
	s_delay_alu instid0(VALU_DEP_3) | instskip(SKIP_1) | instid1(VALU_DEP_2)
	v_cndmask_b32_e64 v4, v34, v4, s0
	v_cmp_gt_i32_e64 s0, 1, v25
	v_and_b32_e32 v32, 7, v4
	s_wait_alu 0xf1ff
	s_delay_alu instid0(VALU_DEP_2) | instskip(SKIP_3) | instid1(VALU_DEP_4)
	v_cndmask_b32_e64 v24, v44, v24, s0
	v_cmp_ne_u32_e64 s0, v26, v47
	v_lshrrev_b32_e32 v4, 2, v4
	v_cmp_lt_i32_e64 s2, 5, v32
	v_and_b32_e32 v34, 7, v24
	s_wait_alu 0xf1ff
	v_cndmask_b32_e64 v26, 0, 1, s0
	v_cmp_gt_i32_e64 s0, 1, v28
	v_lshrrev_b32_e32 v24, 2, v24
	v_cmp_eq_u32_e64 s3, 3, v32
	v_cmp_eq_u32_e64 s1, 3, v34
	v_or_b32_e32 v26, v29, v26
	s_wait_alu 0xf1ff
	v_cndmask_b32_e64 v27, v46, v27, s0
	v_cmp_lt_i32_e64 s0, 5, v34
	s_delay_alu instid0(VALU_DEP_3) | instskip(NEXT) | instid1(VALU_DEP_2)
	v_cndmask_b32_e64 v26, v48, v26, s4
	s_or_b32 s0, s1, s0
	v_cmp_eq_u32_e64 s1, 0x40f, v25
	s_wait_alu 0xfffe
	v_add_co_ci_u32_e64 v24, s0, 0, v24, s0
	s_or_b32 s0, s3, s2
	v_and_b32_e32 v29, 7, v26
	s_wait_alu 0xfffe
	v_add_co_ci_u32_e64 v4, s0, 0, v4, s0
	v_cmp_gt_i32_e64 s0, 31, v25
	v_cmp_eq_u32_e64 s2, 0x40f, v6
	s_wait_alu 0xf1ff
	s_delay_alu instid0(VALU_DEP_2) | instskip(SKIP_1) | instid1(VALU_DEP_2)
	v_cndmask_b32_e64 v24, 0x7c00, v24, s0
	v_cmp_gt_i32_e64 s0, 31, v6
	v_cndmask_b32_e64 v8, v24, v8, s1
	s_wait_alu 0xf1ff
	s_delay_alu instid0(VALU_DEP_2) | instskip(SKIP_3) | instid1(VALU_DEP_4)
	v_cndmask_b32_e64 v4, 0x7c00, v4, s0
	v_cmp_lt_i32_e64 s0, 5, v29
	v_cmp_eq_u32_e64 s1, 3, v29
	v_lshrrev_b32_e32 v24, 2, v26
	v_cndmask_b32_e64 v2, v4, v2, s2
	v_and_or_b32 v4, 0x8000, v9, v8
	s_delay_alu instid0(VALU_DEP_4)
	s_or_b32 s0, s1, s0
	v_lshl_or_b32 v8, v12, 9, 0x7c00
	s_wait_alu 0xfffe
	v_add_co_ci_u32_e64 v6, s0, 0, v24, s0
	v_and_or_b32 v2, 0x8000, v7, v2
	v_and_b32_e32 v7, 7, v27
	v_and_b32_e32 v4, 0xffff, v4
	v_cmp_gt_i32_e64 s0, 31, v30
	v_cmp_eq_u32_e64 s2, 0x40f, v30
	v_add_nc_u32_e32 v12, 0xfffffc10, v33
	v_cmp_eq_u32_e64 s1, 3, v7
	v_lshl_or_b32 v2, v2, 16, v4
	s_wait_alu 0xf1ff
	v_cndmask_b32_e64 v6, 0x7c00, v6, s0
	v_cmp_lt_i32_e64 s0, 5, v7
	v_med3_i32 v7, v31, 0, 13
	v_lshrrev_b32_e32 v24, 16, v3
	global_store_b32 v[18:19], v2, off
	v_lshrrev_b32_e32 v2, 2, v27
	s_or_b32 s0, s1, s0
	v_cndmask_b32_e64 v4, v6, v8, s2
	v_or_b32_e32 v6, 0x1000, v14
	s_wait_alu 0xfffe
	v_add_co_ci_u32_e64 v2, s0, 0, v2, s0
	v_cmp_ne_u32_e64 s0, 0, v10
	s_delay_alu instid0(VALU_DEP_3) | instskip(SKIP_2) | instid1(VALU_DEP_3)
	v_lshrrev_b32_e32 v9, v7, v6
	v_lshrrev_b32_e32 v10, 16, v13
	s_wait_alu 0xf1ff
	v_cndmask_b32_e64 v8, 0, 1, s0
	v_cmp_gt_i32_e64 s0, 31, v28
	v_lshlrev_b32_e32 v7, v7, v9
	v_and_or_b32 v10, 0x8000, v10, v4
	v_mul_f16_e32 v4, v41, v5
	v_lshl_or_b32 v8, v8, 9, 0x7c00
	s_wait_alu 0xf1ff
	v_cndmask_b32_e64 v2, 0x7c00, v2, s0
	v_cmp_eq_u32_e64 s0, 0x40f, v28
	v_fma_f16 v0, v40, v0, -v4
	v_and_or_b32 v4, 0x1ff, v23, v22
	v_lshrrev_b32_e32 v22, 8, v23
	s_wait_alu 0xf1ff
	v_cndmask_b32_e64 v2, v2, v8, s0
	v_cmp_ne_u32_e64 s0, v7, v6
	v_cvt_f32_f16_e32 v0, v0
	v_lshrrev_b32_e32 v8, 16, v11
	v_lshl_or_b32 v11, v12, 12, v14
	s_wait_alu 0xf1ff
	v_cndmask_b32_e64 v5, 0, 1, s0
	v_cmp_ne_u32_e64 s0, 0, v4
	v_cvt_f64_f32_e32 v[6:7], v0
	v_bfe_u32 v0, v23, 20, 11
	v_and_or_b32 v2, 0x8000, v8, v2
	v_or_b32_e32 v9, v9, v5
	v_mul_f64_e32 v[4:5], s[6:7], v[20:21]
	s_wait_alu 0xf1ff
	v_cndmask_b32_e64 v13, 0, 1, s0
	v_cmp_gt_i32_e64 s0, 1, v12
	v_sub_nc_u32_e32 v8, 0x3f1, v0
	v_add_nc_u32_e32 v0, 0xfffffc10, v0
	s_delay_alu instid0(VALU_DEP_4)
	v_and_or_b32 v13, 0xffe, v22, v13
	s_wait_alu 0xf1ff
	v_cndmask_b32_e64 v11, v11, v9, s0
	v_and_b32_e32 v9, 0xffff, v10
	v_med3_i32 v21, v8, 0, 13
	s_mul_u64 s[0:1], s[8:9], 0x21b
	v_or_b32_e32 v20, 0x1000, v13
	v_and_b32_e32 v10, 7, v11
	v_lshl_or_b32 v22, v2, 16, v9
	s_wait_alu 0xfffe
	s_lshl_b64 s[12:13], s[0:1], 2
	v_lshrrev_b32_e32 v2, v21, v20
	v_cmp_lt_i32_e64 s0, 5, v10
	v_cmp_eq_u32_e64 s1, 3, v10
	v_lshrrev_b32_e32 v10, 2, v11
	s_wait_alu 0xfffe
	v_add_co_u32 v8, s2, v18, s12
	v_lshlrev_b32_e32 v11, v21, v2
	s_or_b32 s0, s1, s0
	v_add_co_ci_u32_e64 v9, s2, s13, v19, s2
	s_wait_alu 0xfffe
	v_add_co_ci_u32_e64 v19, s0, 0, v10, s0
	v_cmp_ne_u32_e64 s0, v11, v20
	v_mul_f16_e32 v18, v39, v24
	v_cmp_eq_u32_e64 s2, 0x40f, v12
	s_wait_alu 0xf1ff
	s_delay_alu instid0(VALU_DEP_3)
	v_cndmask_b32_e64 v10, 0, 1, s0
	v_cmp_ne_u32_e64 s0, 0, v14
	v_fmac_f16_e32 v18, v38, v3
	v_mul_f64_e32 v[6:7], s[6:7], v[6:7]
	v_mul_f16_e32 v3, v39, v3
	v_or_b32_e32 v2, v2, v10
	s_wait_alu 0xf1ff
	v_cndmask_b32_e64 v14, 0, 1, s0
	v_lshl_or_b32 v10, v0, 12, v13
	v_and_or_b32 v4, 0x1ff, v5, v4
	v_cmp_gt_i32_e64 s0, 1, v0
	v_cvt_f32_f16_e32 v11, v18
	v_lshrrev_b32_e32 v18, 8, v5
	v_bfe_u32 v20, v5, 20, 11
	v_lshl_or_b32 v14, v14, 9, 0x7c00
	s_wait_alu 0xf1ff
	v_cndmask_b32_e64 v2, v10, v2, s0
	v_cmp_ne_u32_e64 s0, 0, v4
	v_cvt_f64_f32_e32 v[10:11], v11
	v_fma_f16 v3, v38, v24, -v3
	s_delay_alu instid0(VALU_DEP_4)
	v_and_b32_e32 v21, 7, v2
	s_wait_alu 0xf1ff
	v_cndmask_b32_e64 v4, 0, 1, s0
	v_cmp_gt_i32_e64 s0, 31, v12
	v_lshrrev_b32_e32 v2, 2, v2
	v_cvt_f32_f16_e32 v3, v3
	v_cmp_eq_u32_e64 s1, 3, v21
	v_and_or_b32 v4, 0xffe, v18, v4
	v_sub_nc_u32_e32 v18, 0x3f1, v20
	s_wait_alu 0xf1ff
	v_cndmask_b32_e64 v19, 0x7c00, v19, s0
	v_cmp_lt_i32_e64 s0, 5, v21
	v_or_b32_e32 v21, 0x1000, v4
	v_med3_i32 v18, v18, 0, 13
	s_delay_alu instid0(VALU_DEP_4) | instskip(NEXT) | instid1(VALU_DEP_4)
	v_cndmask_b32_e64 v12, v19, v14, s2
	s_or_b32 s0, s1, s0
	v_lshrrev_b32_e32 v14, 16, v15
	s_wait_alu 0xfffe
	v_add_co_ci_u32_e64 v2, s0, 0, v2, s0
	v_lshrrev_b32_e32 v15, v18, v21
	v_cmp_ne_u32_e64 s0, 0, v13
	v_and_or_b32 v12, 0x8000, v14, v12
	s_delay_alu instid0(VALU_DEP_3) | instskip(SKIP_1) | instid1(VALU_DEP_3)
	v_lshlrev_b32_e32 v18, v18, v15
	s_wait_alu 0xf1ff
	v_cndmask_b32_e64 v13, 0, 1, s0
	v_cmp_gt_i32_e64 s0, 31, v0
	v_and_b32_e32 v12, 0xffff, v12
	s_delay_alu instid0(VALU_DEP_3) | instskip(SKIP_1) | instid1(VALU_DEP_3)
	v_lshl_or_b32 v13, v13, 9, 0x7c00
	s_wait_alu 0xf1ff
	v_cndmask_b32_e64 v2, 0x7c00, v2, s0
	v_cmp_ne_u32_e64 s0, v18, v21
	v_add_nc_u32_e32 v18, 0xfffffc10, v20
	v_mul_f64_e32 v[10:11], s[6:7], v[10:11]
	s_wait_alu 0xf1ff
	s_delay_alu instid0(VALU_DEP_3) | instskip(SKIP_3) | instid1(VALU_DEP_2)
	v_cndmask_b32_e64 v14, 0, 1, s0
	v_cmp_eq_u32_e64 s0, 0x40f, v0
	v_cmp_eq_u32_e64 s2, 0x40f, v18
	s_wait_alu 0xf1ff
	v_cndmask_b32_e64 v0, v2, v13, s0
	v_and_or_b32 v2, 0x1ff, v7, v6
	v_or_b32_e32 v6, v15, v14
	v_lshrrev_b32_e32 v14, 8, v7
	v_bfe_u32 v15, v7, 20, 11
	v_lshl_or_b32 v13, v18, 12, v4
	v_cmp_ne_u32_e64 s0, 0, v2
	s_wait_alu 0xf1ff
	s_delay_alu instid0(VALU_DEP_1) | instskip(SKIP_1) | instid1(VALU_DEP_2)
	v_cndmask_b32_e64 v2, 0, 1, s0
	v_cmp_gt_i32_e64 s0, 1, v18
	v_and_or_b32 v14, 0xffe, v14, v2
	v_sub_nc_u32_e32 v2, 0x3f1, v15
	s_wait_alu 0xf1ff
	s_delay_alu instid0(VALU_DEP_3)
	v_cndmask_b32_e64 v6, v13, v6, s0
	v_lshrrev_b32_e32 v13, 16, v23
	v_lshrrev_b32_e32 v23, 16, v1
	v_or_b32_e32 v20, 0x1000, v14
	v_med3_i32 v21, v2, 0, 13
	v_and_b32_e32 v19, 7, v6
	v_and_or_b32 v0, 0x8000, v13, v0
	v_cvt_f64_f32_e32 v[2:3], v3
	v_add_nc_u32_e32 v15, 0xfffffc10, v15
	v_lshrrev_b32_e32 v13, v21, v20
	v_cmp_lt_i32_e64 s0, 5, v19
	v_cmp_eq_u32_e64 s1, 3, v19
	v_lshl_or_b32 v19, v0, 16, v12
	v_lshrrev_b32_e32 v0, 2, v6
	v_lshlrev_b32_e32 v6, v21, v13
	v_mul_f16_e32 v12, v37, v23
	s_or_b32 s0, s1, s0
	v_lshl_or_b32 v21, v15, 12, v14
	s_wait_alu 0xfffe
	v_add_co_ci_u32_e64 v0, s0, 0, v0, s0
	v_cmp_ne_u32_e64 s0, v6, v20
	v_fmac_f16_e32 v12, v36, v1
	v_and_or_b32 v10, 0x1ff, v11, v10
	v_mul_f16_e32 v1, v37, v1
	s_wait_alu 0xf1ff
	v_cndmask_b32_e64 v6, 0, 1, s0
	v_cmp_gt_i32_e64 s0, 31, v18
	s_delay_alu instid0(VALU_DEP_3) | instskip(SKIP_1) | instid1(VALU_DEP_2)
	v_fma_f16 v23, v36, v23, -v1
	s_wait_alu 0xf1ff
	v_cndmask_b32_e64 v20, 0x7c00, v0, s0
	v_cmp_ne_u32_e64 s0, 0, v4
	v_or_b32_e32 v0, v13, v6
	v_cvt_f32_f16_e32 v6, v12
	s_wait_alu 0xf1ff
	s_delay_alu instid0(VALU_DEP_3) | instskip(SKIP_1) | instid1(VALU_DEP_3)
	v_cndmask_b32_e64 v4, 0, 1, s0
	v_cmp_gt_i32_e64 s0, 1, v15
	v_cvt_f64_f32_e32 v[12:13], v6
	s_delay_alu instid0(VALU_DEP_3) | instskip(SKIP_1) | instid1(VALU_DEP_3)
	v_lshl_or_b32 v4, v4, 9, 0x7c00
	s_wait_alu 0xf1ff
	v_cndmask_b32_e64 v6, v21, v0, s0
	v_cmp_ne_u32_e64 s0, 0, v10
	v_lshrrev_b32_e32 v10, 8, v11
	v_bfe_u32 v21, v11, 20, 11
	v_cndmask_b32_e64 v18, v20, v4, s2
	v_and_b32_e32 v24, 7, v6
	s_wait_alu 0xf1ff
	v_cndmask_b32_e64 v0, 0, 1, s0
	v_lshrrev_b32_e32 v6, 2, v6
	v_sub_nc_u32_e32 v25, 0x3f1, v21
	v_lshrrev_b32_e32 v11, 16, v11
	v_cmp_lt_i32_e64 s0, 5, v24
	v_and_or_b32 v10, 0xffe, v10, v0
	v_cmp_eq_u32_e64 s1, 3, v24
	v_mul_f64_e32 v[0:1], s[6:7], v[2:3]
	v_cvt_f32_f16_e32 v2, v23
	v_med3_i32 v24, v25, 0, 13
	v_or_b32_e32 v23, 0x1000, v10
	s_or_b32 s0, s1, s0
	s_movk_i32 s2, 0xfcb1
	s_wait_alu 0xfffe
	v_add_co_ci_u32_e64 v4, s0, 0, v6, s0
	v_lshrrev_b32_e32 v20, v24, v23
	v_cmp_ne_u32_e64 s0, 0, v14
	v_cvt_f64_f32_e32 v[2:3], v2
	s_mov_b32 s3, -1
	s_delay_alu instid0(VALU_DEP_3)
	v_lshlrev_b32_e32 v14, v24, v20
	s_wait_alu 0xf1ff
	v_cndmask_b32_e64 v6, 0, 1, s0
	v_cmp_gt_i32_e64 s0, 31, v15
	v_lshrrev_b32_e32 v24, 16, v5
	s_wait_alu 0xfffe
	s_mul_u64 s[2:3], s[8:9], s[2:3]
	v_lshl_or_b32 v5, v6, 9, 0x7c00
	v_cndmask_b32_e64 v4, 0x7c00, v4, s0
	v_cmp_ne_u32_e64 s0, v14, v23
	v_add_nc_u32_e32 v14, 0xfffffc10, v21
	v_and_or_b32 v18, 0x8000, v24, v18
	s_wait_alu 0xfffe
	s_lshl_b64 s[4:5], s[2:3], 2
	v_cndmask_b32_e64 v6, 0, 1, s0
	v_cmp_eq_u32_e64 s0, 0x40f, v15
	s_wait_alu 0xf1ff
	s_delay_alu instid0(VALU_DEP_1)
	v_cndmask_b32_e64 v15, v4, v5, s0
	v_mul_f64_e32 v[4:5], s[6:7], v[12:13]
	v_or_b32_e32 v13, v20, v6
	v_add_co_u32 v6, s0, v8, s12
	v_lshrrev_b32_e32 v12, 16, v7
	s_wait_alu 0xf1ff
	v_add_co_ci_u32_e64 v7, s0, s13, v9, s0
	v_lshl_or_b32 v20, v14, 12, v10
	v_cmp_gt_i32_e64 s0, 1, v14
	v_and_or_b32 v0, 0x1ff, v1, v0
	v_and_or_b32 v12, 0x8000, v12, v15
	v_and_b32_e32 v15, 0xffff, v18
	v_bfe_u32 v21, v1, 20, 11
	s_wait_alu 0xf1ff
	v_cndmask_b32_e64 v13, v20, v13, s0
	v_cmp_ne_u32_e64 s0, 0, v0
	v_lshrrev_b32_e32 v20, 8, v1
	v_mul_f64_e32 v[2:3], s[6:7], v[2:3]
	v_lshl_or_b32 v12, v12, 16, v15
	v_and_b32_e32 v18, 7, v13
	s_wait_alu 0xf1ff
	v_cndmask_b32_e64 v0, 0, 1, s0
	v_lshrrev_b32_e32 v13, 2, v13
	v_sub_nc_u32_e32 v15, 0x3f1, v21
	v_lshrrev_b32_e32 v1, 16, v1
	v_cmp_lt_i32_e64 s0, 5, v18
	v_cmp_eq_u32_e64 s1, 3, v18
	v_and_or_b32 v0, 0xffe, v20, v0
	v_med3_i32 v15, v15, 0, 13
	s_delay_alu instid0(VALU_DEP_3) | instskip(NEXT) | instid1(VALU_DEP_2)
	s_or_b32 s0, s1, s0
	v_or_b32_e32 v18, 0x1000, v0
	s_wait_alu 0xfffe
	v_add_co_ci_u32_e64 v13, s0, 0, v13, s0
	v_cmp_ne_u32_e64 s0, 0, v10
	s_delay_alu instid0(VALU_DEP_3) | instskip(SKIP_1) | instid1(VALU_DEP_2)
	v_lshrrev_b32_e32 v20, v15, v18
	s_wait_alu 0xf1ff
	v_cndmask_b32_e64 v10, 0, 1, s0
	v_and_or_b32 v4, 0x1ff, v5, v4
	v_cmp_gt_i32_e64 s0, 31, v14
	v_lshlrev_b32_e32 v15, v15, v20
	v_lshrrev_b32_e32 v23, 8, v5
	v_bfe_u32 v24, v5, 20, 11
	v_lshl_or_b32 v10, v10, 9, 0x7c00
	s_wait_alu 0xf1ff
	v_cndmask_b32_e64 v13, 0x7c00, v13, s0
	v_cmp_ne_u32_e64 s0, 0, v4
	v_lshrrev_b32_e32 v5, 16, v5
	s_wait_alu 0xf1ff
	s_delay_alu instid0(VALU_DEP_2)
	v_cndmask_b32_e64 v4, 0, 1, s0
	v_cmp_ne_u32_e64 s0, v15, v18
	v_add_nc_u32_e32 v18, 0xfffffc10, v21
	v_sub_nc_u32_e32 v21, 0x3f1, v24
	v_and_or_b32 v2, 0x1ff, v3, v2
	v_and_or_b32 v4, 0xffe, v23, v4
	s_wait_alu 0xf1ff
	v_cndmask_b32_e64 v15, 0, 1, s0
	v_cmp_eq_u32_e64 s0, 0x40f, v14
	v_lshl_or_b32 v14, v18, 12, v0
	v_bfe_u32 v23, v3, 20, 11
	s_wait_alu 0xf1ff
	s_delay_alu instid0(VALU_DEP_3)
	v_cndmask_b32_e64 v10, v13, v10, s0
	v_or_b32_e32 v13, v20, v15
	v_or_b32_e32 v15, 0x1000, v4
	v_med3_i32 v20, v21, 0, 13
	v_cmp_gt_i32_e64 s0, 1, v18
	v_lshrrev_b32_e32 v21, 8, v3
	v_and_or_b32 v10, 0x8000, v11, v10
	v_sub_nc_u32_e32 v11, 0x3f1, v23
	s_wait_alu 0xf1ff
	v_cndmask_b32_e64 v13, v14, v13, s0
	v_lshrrev_b32_e32 v14, v20, v15
	v_cmp_ne_u32_e64 s0, 0, v2
	v_med3_i32 v11, v11, 0, 13
	s_delay_alu instid0(VALU_DEP_4) | instskip(NEXT) | instid1(VALU_DEP_4)
	v_and_b32_e32 v25, 7, v13
	v_lshlrev_b32_e32 v20, v20, v14
	s_wait_alu 0xf1ff
	v_cndmask_b32_e64 v2, 0, 1, s0
	v_lshrrev_b32_e32 v13, 2, v13
	v_cmp_lt_i32_e64 s0, 5, v25
	v_cmp_ne_u32_e64 s1, v20, v15
	s_delay_alu instid0(VALU_DEP_4) | instskip(SKIP_2) | instid1(VALU_DEP_3)
	v_and_or_b32 v2, 0xffe, v21, v2
	v_add_nc_u32_e32 v21, 0xfffffc10, v24
	s_wait_alu 0xf1ff
	v_cndmask_b32_e64 v15, 0, 1, s1
	v_cmp_eq_u32_e64 s1, 3, v25
	v_or_b32_e32 v20, 0x1000, v2
	v_lshl_or_b32 v24, v21, 12, v4
	s_delay_alu instid0(VALU_DEP_4) | instskip(NEXT) | instid1(VALU_DEP_4)
	v_or_b32_e32 v14, v14, v15
	s_or_b32 s0, s1, s0
	s_delay_alu instid0(VALU_DEP_3) | instskip(SKIP_3) | instid1(VALU_DEP_3)
	v_lshrrev_b32_e32 v15, v11, v20
	s_wait_alu 0xfffe
	v_add_co_ci_u32_e64 v13, s0, 0, v13, s0
	v_cmp_gt_i32_e64 s0, 1, v21
	v_lshlrev_b32_e32 v11, v11, v15
	s_wait_alu 0xf1ff
	s_delay_alu instid0(VALU_DEP_2) | instskip(SKIP_2) | instid1(VALU_DEP_1)
	v_cndmask_b32_e64 v14, v24, v14, s0
	v_cmp_ne_u32_e64 s0, 0, v0
	s_wait_alu 0xf1ff
	v_cndmask_b32_e64 v0, 0, 1, s0
	v_cmp_ne_u32_e64 s0, v11, v20
	v_add_nc_u32_e32 v20, 0xfffffc10, v23
	v_and_b32_e32 v23, 7, v14
	s_delay_alu instid0(VALU_DEP_4)
	v_lshl_or_b32 v0, v0, 9, 0x7c00
	s_wait_alu 0xf1ff
	v_cndmask_b32_e64 v11, 0, 1, s0
	v_cmp_gt_i32_e64 s0, 31, v18
	v_cmp_gt_i32_e64 s2, 1, v20
	v_cmp_eq_u32_e64 s1, 3, v23
	s_delay_alu instid0(VALU_DEP_4) | instskip(SKIP_4) | instid1(VALU_DEP_3)
	v_or_b32_e32 v11, v15, v11
	v_lshl_or_b32 v15, v20, 12, v2
	s_wait_alu 0xf1ff
	v_cndmask_b32_e64 v13, 0x7c00, v13, s0
	v_cmp_lt_i32_e64 s0, 5, v23
	v_cndmask_b32_e64 v11, v15, v11, s2
	v_cmp_eq_u32_e64 s2, 0x40f, v18
	s_delay_alu instid0(VALU_DEP_3) | instskip(NEXT) | instid1(VALU_DEP_1)
	s_or_b32 s0, s1, s0
	v_cndmask_b32_e64 v0, v13, v0, s2
	v_lshrrev_b32_e32 v13, 2, v14
	v_and_b32_e32 v14, 7, v11
	v_lshrrev_b32_e32 v11, 2, v11
	v_cmp_gt_i32_e64 s2, 31, v21
	v_and_or_b32 v0, 0x8000, v1, v0
	s_wait_alu 0xfffe
	v_add_co_ci_u32_e64 v13, s0, 0, v13, s0
	v_cmp_ne_u32_e64 s0, 0, v4
	v_cmp_eq_u32_e64 s1, 3, v14
	v_and_b32_e32 v1, 0xffff, v10
	s_wait_alu 0xf1ff
	v_cndmask_b32_e64 v13, 0x7c00, v13, s2
	v_lshrrev_b32_e32 v10, 16, v3
	v_cndmask_b32_e64 v4, 0, 1, s0
	v_cmp_lt_i32_e64 s0, 5, v14
	s_delay_alu instid0(VALU_DEP_2) | instskip(NEXT) | instid1(VALU_DEP_2)
	v_lshl_or_b32 v4, v4, 9, 0x7c00
	s_or_b32 s0, s1, s0
	s_wait_alu 0xfffe
	v_add_co_ci_u32_e64 v11, s0, 0, v11, s0
	v_cmp_ne_u32_e64 s0, 0, v2
	s_wait_alu 0xf1ff
	s_delay_alu instid0(VALU_DEP_1) | instskip(SKIP_1) | instid1(VALU_DEP_2)
	v_cndmask_b32_e64 v2, 0, 1, s0
	v_cmp_eq_u32_e64 s0, 0x40f, v21
	v_lshl_or_b32 v2, v2, 9, 0x7c00
	s_wait_alu 0xf1ff
	s_delay_alu instid0(VALU_DEP_2) | instskip(SKIP_1) | instid1(VALU_DEP_2)
	v_cndmask_b32_e64 v4, v13, v4, s0
	v_cmp_gt_i32_e64 s0, 31, v20
	v_and_or_b32 v4, 0x8000, v5, v4
	s_wait_alu 0xf1ff
	s_delay_alu instid0(VALU_DEP_2) | instskip(SKIP_2) | instid1(VALU_DEP_1)
	v_cndmask_b32_e64 v11, 0x7c00, v11, s0
	v_cmp_eq_u32_e64 s0, 0x40f, v20
	s_wait_alu 0xf1ff
	v_cndmask_b32_e64 v5, v11, v2, s0
	v_add_co_u32 v2, s0, v6, s4
	s_wait_alu 0xf1ff
	v_add_co_ci_u32_e64 v3, s0, s5, v7, s0
	v_lshl_or_b32 v11, v0, 16, v1
	v_and_or_b32 v0, 0x8000, v10, v5
	v_and_b32_e32 v1, 0xffff, v4
	v_add_co_u32 v4, s0, v2, s12
	s_wait_alu 0xf1ff
	v_add_co_ci_u32_e64 v5, s0, s13, v3, s0
	s_delay_alu instid0(VALU_DEP_3) | instskip(NEXT) | instid1(VALU_DEP_3)
	v_lshl_or_b32 v10, v0, 16, v1
	v_add_co_u32 v0, s0, v4, s12
	s_wait_alu 0xf1ff
	s_delay_alu instid0(VALU_DEP_3)
	v_add_co_ci_u32_e64 v1, s0, s13, v5, s0
	s_clause 0x3
	global_store_b32 v[8:9], v22, off
	global_store_b32 v[6:7], v19, off
	;; [unrolled: 1-line block ×5, first 2 shown]
	s_and_b32 exec_lo, exec_lo, vcc_lo
	s_cbranch_execz .LBB0_23
; %bb.22:
	s_clause 0x2
	global_load_b32 v2, v[16:17], off offset:1848
	global_load_b32 v4, v[16:17], off offset:4004
	global_load_b32 v8, v[16:17], off offset:6160
	ds_load_b32 v3, v35 offset:1848
	ds_load_b32 v5, v35 offset:4004
	;; [unrolled: 1-line block ×3, first 2 shown]
	v_add_co_u32 v0, vcc_lo, v0, s4
	s_wait_alu 0xfffd
	v_add_co_ci_u32_e32 v1, vcc_lo, s5, v1, vcc_lo
	s_wait_dscnt 0x2
	v_lshrrev_b32_e32 v7, 16, v3
	s_wait_dscnt 0x1
	v_lshrrev_b32_e32 v11, 16, v5
	;; [unrolled: 2-line block ×3, first 2 shown]
	s_wait_loadcnt 0x2
	v_lshrrev_b32_e32 v9, 16, v2
	s_wait_loadcnt 0x1
	v_lshrrev_b32_e32 v12, 16, v4
	s_delay_alu instid0(VALU_DEP_2) | instskip(SKIP_1) | instid1(VALU_DEP_3)
	v_mul_f16_e32 v10, v7, v9
	v_mul_f16_e32 v9, v3, v9
	;; [unrolled: 1-line block ×3, first 2 shown]
	s_delay_alu instid0(VALU_DEP_3) | instskip(NEXT) | instid1(VALU_DEP_3)
	v_fmac_f16_e32 v10, v3, v2
	v_fma_f16 v2, v2, v7, -v9
	s_wait_loadcnt 0x0
	v_lshrrev_b32_e32 v7, 16, v8
	v_mul_f16_e32 v9, v5, v12
	v_fmac_f16_e32 v14, v5, v4
	v_cvt_f32_f16_e32 v3, v10
	v_cvt_f32_f16_e32 v5, v2
	v_mul_f16_e32 v10, v13, v7
	v_fma_f16 v9, v4, v11, -v9
	v_cvt_f32_f16_e32 v11, v14
	v_cvt_f64_f32_e32 v[2:3], v3
	v_cvt_f64_f32_e32 v[4:5], v5
	v_mul_f16_e32 v12, v6, v7
	v_fmac_f16_e32 v10, v6, v8
	v_cvt_f32_f16_e32 v9, v9
	v_cvt_f64_f32_e32 v[6:7], v11
	v_add_co_u32 v14, vcc_lo, v0, s12
	v_fma_f16 v11, v8, v13, -v12
	v_cvt_f32_f16_e32 v10, v10
	v_cvt_f64_f32_e32 v[8:9], v9
	s_wait_alu 0xfffd
	v_add_co_ci_u32_e32 v15, vcc_lo, s13, v1, vcc_lo
	v_cvt_f32_f16_e32 v12, v11
	v_cvt_f64_f32_e32 v[10:11], v10
	s_delay_alu instid0(VALU_DEP_2)
	v_cvt_f64_f32_e32 v[12:13], v12
	v_mul_f64_e32 v[2:3], s[6:7], v[2:3]
	v_mul_f64_e32 v[4:5], s[6:7], v[4:5]
	;; [unrolled: 1-line block ×6, first 2 shown]
	v_and_or_b32 v2, 0x1ff, v3, v2
	v_and_or_b32 v4, 0x1ff, v5, v4
	v_lshrrev_b32_e32 v16, 8, v3
	v_bfe_u32 v17, v3, 20, 11
	v_lshrrev_b32_e32 v18, 8, v5
	v_cmp_ne_u32_e32 vcc_lo, 0, v2
	v_and_or_b32 v6, 0x1ff, v7, v6
	v_bfe_u32 v19, v5, 20, 11
	v_lshrrev_b32_e32 v20, 8, v7
	v_bfe_u32 v21, v7, 20, 11
	s_wait_alu 0xfffd
	v_cndmask_b32_e64 v2, 0, 1, vcc_lo
	v_cmp_ne_u32_e32 vcc_lo, 0, v4
	v_and_or_b32 v8, 0x1ff, v9, v8
	v_bfe_u32 v23, v9, 20, 11
	v_and_or_b32 v10, 0x1ff, v11, v10
	v_and_or_b32 v2, 0xffe, v16, v2
	s_wait_alu 0xfffd
	v_cndmask_b32_e64 v4, 0, 1, vcc_lo
	v_cmp_ne_u32_e32 vcc_lo, 0, v6
	v_and_or_b32 v12, 0x1ff, v13, v12
	v_sub_nc_u32_e32 v28, 0x3f1, v17
	v_add_nc_u32_e32 v17, 0xfffffc10, v17
	v_sub_nc_u32_e32 v29, 0x3f1, v19
	s_wait_alu 0xfffd
	v_cndmask_b32_e64 v6, 0, 1, vcc_lo
	v_cmp_ne_u32_e32 vcc_lo, 0, v8
	v_and_or_b32 v4, 0xffe, v18, v4
	v_lshrrev_b32_e32 v22, 8, v9
	v_bfe_u32 v25, v11, 20, 11
	v_bfe_u32 v27, v13, 20, 11
	s_wait_alu 0xfffd
	v_cndmask_b32_e64 v8, 0, 1, vcc_lo
	v_cmp_ne_u32_e32 vcc_lo, 0, v10
	v_add_nc_u32_e32 v19, 0xfffffc10, v19
	v_sub_nc_u32_e32 v30, 0x3f1, v21
	v_sub_nc_u32_e32 v31, 0x3f1, v23
	v_med3_i32 v16, v28, 0, 13
	s_wait_alu 0xfffd
	v_cndmask_b32_e64 v10, 0, 1, vcc_lo
	v_cmp_ne_u32_e32 vcc_lo, 0, v12
	v_med3_i32 v18, v29, 0, 13
	v_and_or_b32 v6, 0xffe, v20, v6
	v_or_b32_e32 v28, 0x1000, v2
	v_lshl_or_b32 v29, v17, 12, v2
	s_wait_alu 0xfffd
	v_cndmask_b32_e64 v12, 0, 1, vcc_lo
	v_cmp_ne_u32_e32 vcc_lo, 0, v2
	v_lshrrev_b32_e32 v24, 8, v11
	v_lshrrev_b32_e32 v26, 8, v13
	v_add_nc_u32_e32 v21, 0xfffffc10, v21
	v_sub_nc_u32_e32 v32, 0x3f1, v25
	s_wait_alu 0xfffd
	v_cndmask_b32_e64 v2, 0, 1, vcc_lo
	v_cmp_ne_u32_e32 vcc_lo, 0, v4
	v_sub_nc_u32_e32 v33, 0x3f1, v27
	v_med3_i32 v20, v30, 0, 13
	v_and_or_b32 v8, 0xffe, v22, v8
	v_med3_i32 v22, v31, 0, 13
	v_or_b32_e32 v30, 0x1000, v4
	v_lshl_or_b32 v31, v19, 12, v4
	s_wait_alu 0xfffd
	v_cndmask_b32_e64 v4, 0, 1, vcc_lo
	v_cmp_ne_u32_e32 vcc_lo, 0, v6
	v_add_nc_u32_e32 v23, 0xfffffc10, v23
	v_and_or_b32 v10, 0xffe, v24, v10
	v_med3_i32 v24, v32, 0, 13
	v_and_or_b32 v12, 0xffe, v26, v12
	v_med3_i32 v26, v33, 0, 13
	v_or_b32_e32 v32, 0x1000, v6
	v_lshl_or_b32 v33, v21, 12, v6
	s_wait_alu 0xfffd
	v_cndmask_b32_e64 v6, 0, 1, vcc_lo
	v_cmp_ne_u32_e32 vcc_lo, 0, v8
	v_add_nc_u32_e32 v25, 0xfffffc10, v25
	v_or_b32_e32 v34, 0x1000, v8
	v_lshl_or_b32 v35, v23, 12, v8
	v_lshrrev_b32_e32 v40, v16, v28
	s_wait_alu 0xfffd
	v_cndmask_b32_e64 v8, 0, 1, vcc_lo
	v_cmp_ne_u32_e32 vcc_lo, 0, v10
	v_add_nc_u32_e32 v27, 0xfffffc10, v27
	v_or_b32_e32 v36, 0x1000, v10
	v_lshl_or_b32 v37, v25, 12, v10
	v_lshrrev_b32_e32 v41, v18, v30
	s_wait_alu 0xfffd
	v_cndmask_b32_e64 v10, 0, 1, vcc_lo
	v_cmp_ne_u32_e32 vcc_lo, 0, v12
	v_lshlrev_b32_e32 v16, v16, v40
	v_or_b32_e32 v38, 0x1000, v12
	v_lshl_or_b32 v39, v27, 12, v12
	v_lshrrev_b32_e32 v42, v20, v32
	s_wait_alu 0xfffd
	v_cndmask_b32_e64 v12, 0, 1, vcc_lo
	v_lshlrev_b32_e32 v18, v18, v41
	v_cmp_ne_u32_e32 vcc_lo, v16, v28
	v_lshrrev_b32_e32 v43, v22, v34
	v_lshlrev_b32_e32 v20, v20, v42
	v_lshrrev_b32_e32 v44, v24, v36
	v_lshrrev_b32_e32 v45, v26, v38
	s_wait_alu 0xfffd
	v_cndmask_b32_e64 v16, 0, 1, vcc_lo
	v_cmp_ne_u32_e32 vcc_lo, v18, v30
	v_lshlrev_b32_e32 v22, v22, v43
	v_lshlrev_b32_e32 v24, v24, v44
	;; [unrolled: 1-line block ×3, first 2 shown]
	v_or_b32_e32 v16, v40, v16
	s_wait_alu 0xfffd
	v_cndmask_b32_e64 v18, 0, 1, vcc_lo
	v_cmp_ne_u32_e32 vcc_lo, v20, v32
	v_lshl_or_b32 v2, v2, 9, 0x7c00
	v_lshl_or_b32 v4, v4, 9, 0x7c00
	v_lshl_or_b32 v6, v6, 9, 0x7c00
	v_or_b32_e32 v18, v41, v18
	s_wait_alu 0xfffd
	v_cndmask_b32_e64 v20, 0, 1, vcc_lo
	v_cmp_ne_u32_e32 vcc_lo, v22, v34
	v_lshl_or_b32 v8, v8, 9, 0x7c00
	v_lshl_or_b32 v10, v10, 9, 0x7c00
	v_lshrrev_b32_e32 v3, 16, v3
	v_or_b32_e32 v20, v42, v20
	s_wait_alu 0xfffd
	v_cndmask_b32_e64 v22, 0, 1, vcc_lo
	v_cmp_ne_u32_e32 vcc_lo, v24, v36
	v_lshrrev_b32_e32 v7, 16, v7
	v_lshrrev_b32_e32 v5, 16, v5
	;; [unrolled: 1-line block ×3, first 2 shown]
	v_or_b32_e32 v22, v43, v22
	s_wait_alu 0xfffd
	v_cndmask_b32_e64 v24, 0, 1, vcc_lo
	v_cmp_ne_u32_e32 vcc_lo, v26, v38
	v_lshl_or_b32 v12, v12, 9, 0x7c00
	v_lshrrev_b32_e32 v9, 16, v9
	v_lshrrev_b32_e32 v13, 16, v13
	v_or_b32_e32 v24, v44, v24
	s_wait_alu 0xfffd
	v_cndmask_b32_e64 v26, 0, 1, vcc_lo
	v_cmp_gt_i32_e32 vcc_lo, 1, v17
	s_delay_alu instid0(VALU_DEP_2) | instskip(SKIP_3) | instid1(VALU_DEP_2)
	v_or_b32_e32 v26, v45, v26
	s_wait_alu 0xfffd
	v_cndmask_b32_e32 v16, v29, v16, vcc_lo
	v_cmp_gt_i32_e32 vcc_lo, 1, v19
	v_and_b32_e32 v28, 7, v16
	s_wait_alu 0xfffd
	v_cndmask_b32_e32 v18, v31, v18, vcc_lo
	v_cmp_gt_i32_e32 vcc_lo, 1, v21
	v_lshrrev_b32_e32 v16, 2, v16
	v_cmp_eq_u32_e64 s0, 3, v28
	s_wait_alu 0xfffd
	v_cndmask_b32_e32 v20, v33, v20, vcc_lo
	v_cmp_gt_i32_e32 vcc_lo, 1, v23
	s_delay_alu instid0(VALU_DEP_2)
	v_and_b32_e32 v30, 7, v20
	s_wait_alu 0xfffd
	v_cndmask_b32_e32 v22, v35, v22, vcc_lo
	v_cmp_gt_i32_e32 vcc_lo, 1, v25
	v_lshrrev_b32_e32 v20, 2, v20
	v_cmp_lt_i32_e64 s3, 5, v30
	v_cmp_eq_u32_e64 s4, 3, v30
	s_wait_alu 0xfffd
	v_cndmask_b32_e32 v24, v37, v24, vcc_lo
	v_cmp_gt_i32_e32 vcc_lo, 1, v27
	s_delay_alu instid0(VALU_DEP_2)
	v_and_b32_e32 v32, 7, v24
	s_wait_alu 0xfffd
	v_cndmask_b32_e32 v26, v39, v26, vcc_lo
	v_cmp_lt_i32_e32 vcc_lo, 5, v28
	v_lshrrev_b32_e32 v24, 2, v24
	v_cmp_lt_i32_e64 s7, 5, v32
	v_cmp_eq_u32_e64 s8, 3, v32
	s_or_b32 vcc_lo, s0, vcc_lo
	s_wait_alu 0xfffe
	v_add_co_ci_u32_e32 v16, vcc_lo, 0, v16, vcc_lo
	v_and_b32_e32 v29, 7, v18
	v_lshrrev_b32_e32 v18, 2, v18
	s_delay_alu instid0(VALU_DEP_2) | instskip(SKIP_1) | instid1(VALU_DEP_1)
	v_cmp_lt_i32_e64 s1, 5, v29
	v_cmp_eq_u32_e64 s2, 3, v29
	s_or_b32 vcc_lo, s2, s1
	s_wait_alu 0xfffe
	v_add_co_ci_u32_e32 v18, vcc_lo, 0, v18, vcc_lo
	s_or_b32 vcc_lo, s4, s3
	s_wait_alu 0xfffe
	v_add_co_ci_u32_e32 v20, vcc_lo, 0, v20, vcc_lo
	v_and_b32_e32 v31, 7, v22
	v_lshrrev_b32_e32 v22, 2, v22
	s_delay_alu instid0(VALU_DEP_2) | instskip(SKIP_1) | instid1(VALU_DEP_1)
	v_cmp_lt_i32_e64 s5, 5, v31
	v_cmp_eq_u32_e64 s6, 3, v31
	s_or_b32 vcc_lo, s6, s5
	s_wait_alu 0xfffe
	v_add_co_ci_u32_e32 v22, vcc_lo, 0, v22, vcc_lo
	s_or_b32 vcc_lo, s8, s7
	s_wait_alu 0xfffe
	v_add_co_ci_u32_e32 v24, vcc_lo, 0, v24, vcc_lo
	v_and_b32_e32 v33, 7, v26
	v_lshrrev_b32_e32 v26, 2, v26
	s_delay_alu instid0(VALU_DEP_2) | instskip(SKIP_1) | instid1(VALU_DEP_1)
	v_cmp_lt_i32_e64 s9, 5, v33
	v_cmp_eq_u32_e64 s10, 3, v33
	s_or_b32 vcc_lo, s10, s9
	s_wait_alu 0xfffe
	v_add_co_ci_u32_e32 v26, vcc_lo, 0, v26, vcc_lo
	v_cmp_gt_i32_e32 vcc_lo, 31, v17
	s_wait_alu 0xfffd
	v_cndmask_b32_e32 v16, 0x7c00, v16, vcc_lo
	v_cmp_gt_i32_e32 vcc_lo, 31, v19
	s_wait_alu 0xfffd
	v_cndmask_b32_e32 v18, 0x7c00, v18, vcc_lo
	;; [unrolled: 3-line block ×6, first 2 shown]
	v_cmp_eq_u32_e32 vcc_lo, 0x40f, v17
	s_wait_alu 0xfffd
	v_cndmask_b32_e32 v2, v16, v2, vcc_lo
	v_cmp_eq_u32_e32 vcc_lo, 0x40f, v19
	s_delay_alu instid0(VALU_DEP_2) | instskip(SKIP_3) | instid1(VALU_DEP_2)
	v_and_or_b32 v2, 0x8000, v3, v2
	s_wait_alu 0xfffd
	v_cndmask_b32_e32 v4, v18, v4, vcc_lo
	v_cmp_eq_u32_e32 vcc_lo, 0x40f, v21
	v_and_or_b32 v4, 0x8000, v5, v4
	s_wait_alu 0xfffd
	v_cndmask_b32_e32 v6, v20, v6, vcc_lo
	v_cmp_eq_u32_e32 vcc_lo, 0x40f, v23
	s_delay_alu instid0(VALU_DEP_2) | instskip(SKIP_3) | instid1(VALU_DEP_2)
	v_and_or_b32 v3, 0x8000, v7, v6
	s_wait_alu 0xfffd
	v_cndmask_b32_e32 v8, v22, v8, vcc_lo
	v_cmp_eq_u32_e32 vcc_lo, 0x40f, v25
	v_and_or_b32 v6, 0x8000, v9, v8
	s_wait_alu 0xfffd
	v_cndmask_b32_e32 v10, v24, v10, vcc_lo
	v_cmp_eq_u32_e32 vcc_lo, 0x40f, v27
	v_and_b32_e32 v8, 0xffff, v2
	v_and_b32_e32 v9, 0xffff, v3
	s_delay_alu instid0(VALU_DEP_4)
	v_and_or_b32 v5, 0x8000, v11, v10
	s_wait_alu 0xfffd
	v_cndmask_b32_e32 v12, v26, v12, vcc_lo
	v_add_co_u32 v2, vcc_lo, v14, s12
	v_lshl_or_b32 v4, v4, 16, v8
	v_and_b32_e32 v5, 0xffff, v5
	s_delay_alu instid0(VALU_DEP_4) | instskip(SKIP_3) | instid1(VALU_DEP_3)
	v_and_or_b32 v7, 0x8000, v13, v12
	v_lshl_or_b32 v6, v6, 16, v9
	s_wait_alu 0xfffd
	v_add_co_ci_u32_e32 v3, vcc_lo, s13, v15, vcc_lo
	v_lshl_or_b32 v5, v7, 16, v5
	global_store_b32 v[0:1], v4, off
	global_store_b32 v[14:15], v6, off
	;; [unrolled: 1-line block ×3, first 2 shown]
.LBB0_23:
	s_nop 0
	s_sendmsg sendmsg(MSG_DEALLOC_VGPRS)
	s_endpgm
	.section	.rodata,"a",@progbits
	.p2align	6, 0x0
	.amdhsa_kernel bluestein_single_back_len1617_dim1_half_op_CI_CI
		.amdhsa_group_segment_fixed_size 6468
		.amdhsa_private_segment_fixed_size 0
		.amdhsa_kernarg_size 104
		.amdhsa_user_sgpr_count 2
		.amdhsa_user_sgpr_dispatch_ptr 0
		.amdhsa_user_sgpr_queue_ptr 0
		.amdhsa_user_sgpr_kernarg_segment_ptr 1
		.amdhsa_user_sgpr_dispatch_id 0
		.amdhsa_user_sgpr_private_segment_size 0
		.amdhsa_wavefront_size32 1
		.amdhsa_uses_dynamic_stack 0
		.amdhsa_enable_private_segment 0
		.amdhsa_system_sgpr_workgroup_id_x 1
		.amdhsa_system_sgpr_workgroup_id_y 0
		.amdhsa_system_sgpr_workgroup_id_z 0
		.amdhsa_system_sgpr_workgroup_info 0
		.amdhsa_system_vgpr_workitem_id 0
		.amdhsa_next_free_vgpr 198
		.amdhsa_next_free_sgpr 18
		.amdhsa_reserve_vcc 1
		.amdhsa_float_round_mode_32 0
		.amdhsa_float_round_mode_16_64 0
		.amdhsa_float_denorm_mode_32 3
		.amdhsa_float_denorm_mode_16_64 3
		.amdhsa_fp16_overflow 0
		.amdhsa_workgroup_processor_mode 1
		.amdhsa_memory_ordered 1
		.amdhsa_forward_progress 0
		.amdhsa_round_robin_scheduling 0
		.amdhsa_exception_fp_ieee_invalid_op 0
		.amdhsa_exception_fp_denorm_src 0
		.amdhsa_exception_fp_ieee_div_zero 0
		.amdhsa_exception_fp_ieee_overflow 0
		.amdhsa_exception_fp_ieee_underflow 0
		.amdhsa_exception_fp_ieee_inexact 0
		.amdhsa_exception_int_div_zero 0
	.end_amdhsa_kernel
	.text
.Lfunc_end0:
	.size	bluestein_single_back_len1617_dim1_half_op_CI_CI, .Lfunc_end0-bluestein_single_back_len1617_dim1_half_op_CI_CI
                                        ; -- End function
	.section	.AMDGPU.csdata,"",@progbits
; Kernel info:
; codeLenInByte = 18896
; NumSgprs: 20
; NumVgprs: 198
; ScratchSize: 0
; MemoryBound: 0
; FloatMode: 240
; IeeeMode: 1
; LDSByteSize: 6468 bytes/workgroup (compile time only)
; SGPRBlocks: 2
; VGPRBlocks: 24
; NumSGPRsForWavesPerEU: 20
; NumVGPRsForWavesPerEU: 198
; Occupancy: 7
; WaveLimiterHint : 1
; COMPUTE_PGM_RSRC2:SCRATCH_EN: 0
; COMPUTE_PGM_RSRC2:USER_SGPR: 2
; COMPUTE_PGM_RSRC2:TRAP_HANDLER: 0
; COMPUTE_PGM_RSRC2:TGID_X_EN: 1
; COMPUTE_PGM_RSRC2:TGID_Y_EN: 0
; COMPUTE_PGM_RSRC2:TGID_Z_EN: 0
; COMPUTE_PGM_RSRC2:TIDIG_COMP_CNT: 0
	.text
	.p2alignl 7, 3214868480
	.fill 96, 4, 3214868480
	.type	__hip_cuid_88215fa2cefc295f,@object ; @__hip_cuid_88215fa2cefc295f
	.section	.bss,"aw",@nobits
	.globl	__hip_cuid_88215fa2cefc295f
__hip_cuid_88215fa2cefc295f:
	.byte	0                               ; 0x0
	.size	__hip_cuid_88215fa2cefc295f, 1

	.ident	"AMD clang version 19.0.0git (https://github.com/RadeonOpenCompute/llvm-project roc-6.4.0 25133 c7fe45cf4b819c5991fe208aaa96edf142730f1d)"
	.section	".note.GNU-stack","",@progbits
	.addrsig
	.addrsig_sym __hip_cuid_88215fa2cefc295f
	.amdgpu_metadata
---
amdhsa.kernels:
  - .args:
      - .actual_access:  read_only
        .address_space:  global
        .offset:         0
        .size:           8
        .value_kind:     global_buffer
      - .actual_access:  read_only
        .address_space:  global
        .offset:         8
        .size:           8
        .value_kind:     global_buffer
      - .actual_access:  read_only
        .address_space:  global
        .offset:         16
        .size:           8
        .value_kind:     global_buffer
      - .actual_access:  read_only
        .address_space:  global
        .offset:         24
        .size:           8
        .value_kind:     global_buffer
      - .actual_access:  read_only
        .address_space:  global
        .offset:         32
        .size:           8
        .value_kind:     global_buffer
      - .offset:         40
        .size:           8
        .value_kind:     by_value
      - .address_space:  global
        .offset:         48
        .size:           8
        .value_kind:     global_buffer
      - .address_space:  global
        .offset:         56
        .size:           8
        .value_kind:     global_buffer
      - .address_space:  global
        .offset:         64
        .size:           8
        .value_kind:     global_buffer
      - .address_space:  global
        .offset:         72
        .size:           8
        .value_kind:     global_buffer
      - .offset:         80
        .size:           4
        .value_kind:     by_value
      - .address_space:  global
        .offset:         88
        .size:           8
        .value_kind:     global_buffer
      - .address_space:  global
        .offset:         96
        .size:           8
        .value_kind:     global_buffer
    .group_segment_fixed_size: 6468
    .kernarg_segment_align: 8
    .kernarg_segment_size: 104
    .language:       OpenCL C
    .language_version:
      - 2
      - 0
    .max_flat_workgroup_size: 231
    .name:           bluestein_single_back_len1617_dim1_half_op_CI_CI
    .private_segment_fixed_size: 0
    .sgpr_count:     20
    .sgpr_spill_count: 0
    .symbol:         bluestein_single_back_len1617_dim1_half_op_CI_CI.kd
    .uniform_work_group_size: 1
    .uses_dynamic_stack: false
    .vgpr_count:     198
    .vgpr_spill_count: 0
    .wavefront_size: 32
    .workgroup_processor_mode: 1
amdhsa.target:   amdgcn-amd-amdhsa--gfx1201
amdhsa.version:
  - 1
  - 2
...

	.end_amdgpu_metadata
